;; amdgpu-corpus repo=ROCm/rocFFT kind=compiled arch=gfx950 opt=O3
	.text
	.amdgcn_target "amdgcn-amd-amdhsa--gfx950"
	.amdhsa_code_object_version 6
	.protected	bluestein_single_fwd_len1573_dim1_sp_op_CI_CI ; -- Begin function bluestein_single_fwd_len1573_dim1_sp_op_CI_CI
	.globl	bluestein_single_fwd_len1573_dim1_sp_op_CI_CI
	.p2align	8
	.type	bluestein_single_fwd_len1573_dim1_sp_op_CI_CI,@function
bluestein_single_fwd_len1573_dim1_sp_op_CI_CI: ; @bluestein_single_fwd_len1573_dim1_sp_op_CI_CI
; %bb.0:
	s_load_dwordx4 s[8:11], s[0:1], 0x28
	v_mul_u32_u24_e32 v1, 0x1cb, v0
	v_add_u32_sdwa v66, s2, v1 dst_sel:DWORD dst_unused:UNUSED_PAD src0_sel:DWORD src1_sel:WORD_1
	v_mov_b32_e32 v67, 0
	s_waitcnt lgkmcnt(0)
	v_cmp_gt_u64_e32 vcc, s[8:9], v[66:67]
	s_and_saveexec_b64 s[2:3], vcc
	s_cbranch_execz .LBB0_15
; %bb.1:
	s_load_dwordx2 s[8:9], s[0:1], 0x0
	s_load_dwordx2 s[12:13], s[0:1], 0x38
	s_movk_i32 s2, 0x8f
	v_mul_lo_u16_sdwa v1, v1, s2 dst_sel:DWORD dst_unused:UNUSED_PAD src0_sel:WORD_1 src1_sel:DWORD
	v_sub_u16_e32 v67, v0, v1
	s_movk_i32 s2, 0x79
	v_cmp_gt_u16_e64 s[2:3], s2, v67
	v_lshlrev_b32_e32 v64, 3, v67
	s_and_saveexec_b64 s[14:15], s[2:3]
	s_cbranch_execz .LBB0_3
; %bb.2:
	s_load_dwordx2 s[4:5], s[0:1], 0x18
	v_mov_b32_e32 v0, s10
	v_mov_b32_e32 v1, s11
	;; [unrolled: 1-line block ×4, first 2 shown]
	s_waitcnt lgkmcnt(0)
	s_load_dwordx4 s[4:7], s[4:5], 0x0
	s_waitcnt lgkmcnt(0)
	v_mad_u64_u32 v[2:3], s[10:11], s6, v66, 0
	v_mad_u64_u32 v[4:5], s[10:11], s4, v67, 0
	v_mov_b32_e32 v6, v3
	v_mov_b32_e32 v8, v5
	v_mad_u64_u32 v[6:7], s[6:7], s7, v66, v[6:7]
	v_mov_b32_e32 v3, v6
	v_mad_u64_u32 v[6:7], s[6:7], s5, v67, v[8:9]
	v_mov_b32_e32 v5, v6
	v_lshl_add_u64 v[0:1], v[2:3], 3, v[0:1]
	v_lshl_add_u64 v[0:1], v[4:5], 3, v[0:1]
	global_load_dwordx2 v[2:3], v[0:1], off
	v_mad_u64_u32 v[0:1], s[6:7], s4, v52, v[0:1]
	s_mul_i32 s10, s5, 0x3c8
	v_add_u32_e32 v1, s10, v1
	v_mad_u64_u32 v[6:7], s[6:7], s4, v52, v[0:1]
	v_add_u32_e32 v7, s10, v7
	v_mad_u64_u32 v[8:9], s[6:7], s4, v52, v[6:7]
	v_add_u32_e32 v9, s10, v9
	v_mad_u64_u32 v[18:19], s[6:7], s4, v52, v[8:9]
	v_add_u32_e32 v19, s10, v19
	global_load_dwordx2 v[10:11], v64, s[8:9]
	global_load_dwordx2 v[12:13], v64, s[8:9] offset:968
	global_load_dwordx2 v[14:15], v64, s[8:9] offset:1936
	;; [unrolled: 1-line block ×3, first 2 shown]
	global_load_dwordx2 v[20:21], v[0:1], off
	global_load_dwordx2 v[22:23], v[6:7], off
	;; [unrolled: 1-line block ×4, first 2 shown]
	global_load_dwordx2 v[28:29], v64, s[8:9] offset:3872
	v_mad_u64_u32 v[0:1], s[6:7], s4, v52, v[18:19]
	v_add_u32_e32 v1, s10, v1
	v_lshl_add_u64 v[4:5], s[8:9], 0, v[64:65]
	global_load_dwordx2 v[6:7], v[0:1], off
	s_movk_i32 s5, 0x1000
	v_mad_u64_u32 v[0:1], s[6:7], s4, v52, v[0:1]
	v_add_co_u32_e32 v8, vcc, s5, v4
	v_add_u32_e32 v1, s10, v1
	s_nop 0
	v_addc_co_u32_e32 v9, vcc, 0, v5, vcc
	global_load_dwordx2 v[18:19], v[0:1], off
	global_load_dwordx2 v[30:31], v[8:9], off offset:744
	v_mad_u64_u32 v[0:1], s[6:7], s4, v52, v[0:1]
	v_add_u32_e32 v1, s10, v1
	global_load_dwordx2 v[32:33], v[0:1], off
	v_mad_u64_u32 v[0:1], s[6:7], s4, v52, v[0:1]
	v_add_u32_e32 v1, s10, v1
	global_load_dwordx2 v[34:35], v[8:9], off offset:1712
	global_load_dwordx2 v[36:37], v[0:1], off
	global_load_dwordx2 v[38:39], v[8:9], off offset:2680
	global_load_dwordx2 v[40:41], v[8:9], off offset:3648
	v_mad_u64_u32 v[0:1], s[6:7], s4, v52, v[0:1]
	v_add_u32_e32 v1, s10, v1
	s_movk_i32 s5, 0x2000
	global_load_dwordx2 v[8:9], v[0:1], off
	v_add_co_u32_e32 v4, vcc, s5, v4
	v_mad_u64_u32 v[0:1], s[6:7], s4, v52, v[0:1]
	s_nop 0
	v_addc_co_u32_e32 v5, vcc, 0, v5, vcc
	v_add_u32_e32 v1, s10, v1
	global_load_dwordx2 v[42:43], v[4:5], off offset:520
	global_load_dwordx2 v[44:45], v[0:1], off
	global_load_dwordx2 v[46:47], v[4:5], off offset:1488
	v_mad_u64_u32 v[0:1], s[6:7], s4, v52, v[0:1]
	v_add_u32_e32 v1, s10, v1
	global_load_dwordx2 v[48:49], v[0:1], off
	global_load_dwordx2 v[50:51], v[4:5], off offset:2456
	v_mad_u64_u32 v[0:1], s[4:5], s4, v52, v[0:1]
	v_add_u32_e32 v1, s10, v1
	global_load_dwordx2 v[52:53], v[4:5], off offset:3424
	global_load_dwordx2 v[54:55], v[0:1], off
	v_add_u32_e32 v4, 0x400, v64
	s_waitcnt vmcnt(24)
	v_mul_f32_e32 v0, v3, v11
	v_mul_f32_e32 v1, v2, v11
	v_fmac_f32_e32 v0, v2, v10
	v_fma_f32 v1, v3, v10, -v1
	s_waitcnt vmcnt(20)
	v_mul_f32_e32 v2, v21, v13
	v_mul_f32_e32 v3, v20, v13
	v_fmac_f32_e32 v2, v20, v12
	v_fma_f32 v3, v21, v12, -v3
	ds_write2_b64 v64, v[0:1], v[2:3] offset1:121
	s_waitcnt vmcnt(19)
	v_mul_f32_e32 v0, v23, v15
	v_mul_f32_e32 v1, v22, v15
	s_waitcnt vmcnt(18)
	v_mul_f32_e32 v2, v25, v17
	v_mul_f32_e32 v3, v24, v17
	v_fmac_f32_e32 v0, v22, v14
	v_fma_f32 v1, v23, v14, -v1
	v_fmac_f32_e32 v2, v24, v16
	v_fma_f32 v3, v25, v16, -v3
	ds_write2_b64 v4, v[0:1], v[2:3] offset0:114 offset1:235
	s_waitcnt vmcnt(16)
	v_mul_f32_e32 v0, v27, v29
	v_mul_f32_e32 v1, v26, v29
	s_waitcnt vmcnt(13)
	v_mul_f32_e32 v2, v7, v31
	v_mul_f32_e32 v3, v6, v31
	v_fmac_f32_e32 v0, v26, v28
	v_fma_f32 v1, v27, v28, -v1
	v_fmac_f32_e32 v2, v6, v30
	v_fma_f32 v3, v7, v30, -v3
	v_add_u32_e32 v4, 0xc00, v64
	ds_write2_b64 v4, v[0:1], v[2:3] offset0:100 offset1:221
	s_waitcnt vmcnt(11)
	v_mul_f32_e32 v0, v19, v35
	v_mul_f32_e32 v1, v18, v35
	s_waitcnt vmcnt(9)
	v_mul_f32_e32 v2, v33, v39
	v_mul_f32_e32 v3, v32, v39
	v_fmac_f32_e32 v0, v18, v34
	v_fma_f32 v1, v19, v34, -v1
	v_fmac_f32_e32 v2, v32, v38
	v_fma_f32 v3, v33, v38, -v3
	v_add_u32_e32 v4, 0x1400, v64
	;; [unrolled: 12-line block ×4, first 2 shown]
	ds_write2_b64 v4, v[0:1], v[2:3] offset0:58 offset1:179
	s_waitcnt vmcnt(0)
	v_mul_f32_e32 v0, v55, v53
	v_mul_f32_e32 v1, v54, v53
	v_fmac_f32_e32 v0, v54, v52
	v_fma_f32 v1, v55, v52, -v1
	ds_write_b64 v64, v[0:1] offset:11616
.LBB0_3:
	s_or_b64 exec, exec, s[14:15]
	s_load_dwordx2 s[4:5], s[0:1], 0x20
	s_load_dwordx2 s[10:11], s[0:1], 0x8
	v_mov_b64_e32 v[0:1], 0
	s_waitcnt lgkmcnt(0)
	s_barrier
	s_waitcnt lgkmcnt(0)
                                        ; implicit-def: $vgpr6
                                        ; implicit-def: $vgpr16
                                        ; implicit-def: $vgpr10
                                        ; implicit-def: $vgpr12
                                        ; implicit-def: $vgpr26
                                        ; implicit-def: $vgpr40
	s_and_saveexec_b64 s[0:1], s[2:3]
	s_cbranch_execz .LBB0_5
; %bb.4:
	v_add_u32_e32 v4, 0x400, v64
	ds_read2_b64 v[24:27], v4 offset0:114 offset1:235
	v_add_u32_e32 v4, 0xc00, v64
	v_add_u32_e32 v12, 0x1c00, v64
	ds_read2_b64 v[8:11], v4 offset0:100 offset1:221
	v_add_u32_e32 v4, 0x1400, v64
	ds_read2_b64 v[16:19], v12 offset0:72 offset1:193
	v_add_u32_e32 v12, 0x2400, v64
	ds_read2_b64 v[0:3], v64 offset1:121
	ds_read2_b64 v[4:7], v4 offset0:86 offset1:207
	ds_read2_b64 v[12:15], v12 offset0:58 offset1:179
	ds_read_b64 v[40:41], v64 offset:11616
.LBB0_5:
	s_or_b64 exec, exec, s[0:1]
	s_waitcnt lgkmcnt(0)
	v_pk_add_f32 v[32:33], v[2:3], v[40:41] neg_lo:[0,1] neg_hi:[0,1]
	s_mov_b32 s0, 0xbeedf032
	v_pk_add_f32 v[30:31], v[40:41], v[2:3]
	v_pk_add_f32 v[54:55], v[24:25], v[14:15] neg_lo:[0,1] neg_hi:[0,1]
	s_mov_b32 s14, 0x3f62ad3f
	v_pk_mul_f32 v[22:23], v[32:33], s[0:1] op_sel_hi:[1,0]
	s_mov_b32 s22, 0xbf52af12
	v_pk_add_f32 v[28:29], v[14:15], v[24:25]
	v_pk_fma_f32 v[50:51], v[30:31], s[14:15], v[22:23] op_sel:[0,0,1] op_sel_hi:[1,0,0]
	v_pk_fma_f32 v[52:53], v[30:31], s[14:15], v[22:23] op_sel:[0,0,1] op_sel_hi:[1,0,0] neg_lo:[0,0,1] neg_hi:[0,0,1]
	s_mov_b32 s6, 0x3f116cb1
	v_pk_mul_f32 v[36:37], v[54:55], s[22:23] op_sel:[1,0] op_sel_hi:[0,0]
	v_mov_b32_e32 v22, v50
	v_mov_b32_e32 v23, v53
	v_pk_fma_f32 v[56:57], v[28:29], s[6:7], v[36:37] op_sel_hi:[1,0,1]
	v_pk_fma_f32 v[58:59], v[28:29], s[6:7], v[36:37] op_sel_hi:[1,0,1] neg_lo:[0,0,1] neg_hi:[0,0,1]
	v_pk_add_f32 v[22:23], v[22:23], v[0:1]
	v_pk_mul_f32 v[34:35], v[32:33], s[22:23] op_sel_hi:[1,0]
	v_mov_b32_e32 v36, v56
	v_mov_b32_e32 v37, v59
	s_mov_b32 s18, 0xbf6f5d39
	v_pk_fma_f32 v[42:43], v[30:31], s[6:7], v[34:35] op_sel:[0,0,1] op_sel_hi:[1,0,0]
	v_pk_fma_f32 v[44:45], v[30:31], s[6:7], v[34:35] op_sel:[0,0,1] op_sel_hi:[1,0,0] neg_lo:[0,0,1] neg_hi:[0,0,1]
	v_pk_add_f32 v[22:23], v[36:37], v[22:23]
	s_mov_b32 s16, 0xbeb58ec6
	v_pk_mul_f32 v[36:37], v[54:55], s[18:19] op_sel:[1,0] op_sel_hi:[0,0]
	v_mov_b32_e32 v34, v42
	v_mov_b32_e32 v35, v45
	v_pk_fma_f32 v[46:47], v[28:29], s[16:17], v[36:37] op_sel_hi:[1,0,1]
	v_pk_fma_f32 v[48:49], v[28:29], s[16:17], v[36:37] op_sel_hi:[1,0,1] neg_lo:[0,0,1] neg_hi:[0,0,1]
	v_pk_add_f32 v[34:35], v[34:35], v[0:1]
	v_mov_b32_e32 v36, v46
	v_mov_b32_e32 v37, v49
	v_pk_add_f32 v[78:79], v[26:27], v[12:13] neg_lo:[0,1] neg_hi:[0,1]
	s_mov_b32 s38, 0xbf7e222b
	v_pk_add_f32 v[20:21], v[12:13], v[26:27]
	v_pk_add_f32 v[34:35], v[36:37], v[34:35]
	s_mov_b32 s20, 0x3df6dbef
	v_pk_mul_f32 v[36:37], v[78:79], s[38:39] op_sel:[1,0] op_sel_hi:[0,0]
	v_pk_fma_f32 v[70:71], v[20:21], s[20:21], v[36:37] op_sel_hi:[1,0,1]
	v_pk_fma_f32 v[76:77], v[20:21], s[20:21], v[36:37] op_sel_hi:[1,0,1] neg_lo:[0,0,1] neg_hi:[0,0,1]
	v_mov_b32_e32 v36, v70
	v_mov_b32_e32 v37, v77
	s_mov_b32 s28, 0xbe750f2a
	v_pk_add_f32 v[22:23], v[36:37], v[22:23]
	s_mov_b32 s24, 0xbf788fa5
	v_pk_mul_f32 v[36:37], v[78:79], s[28:29] op_sel:[1,0] op_sel_hi:[0,0]
	v_pk_fma_f32 v[60:61], v[20:21], s[24:25], v[36:37] op_sel_hi:[1,0,1]
	v_pk_fma_f32 v[62:63], v[20:21], s[24:25], v[36:37] op_sel_hi:[1,0,1] neg_lo:[0,0,1] neg_hi:[0,0,1]
	v_mov_b32_e32 v36, v60
	v_mov_b32_e32 v37, v63
	v_pk_add_f32 v[96:97], v[8:9], v[18:19] neg_lo:[0,1] neg_hi:[0,1]
	v_pk_add_f32 v[36:37], v[36:37], v[34:35]
	v_pk_add_f32 v[34:35], v[18:19], v[8:9]
	v_pk_mul_f32 v[38:39], v[96:97], s[18:19] op_sel:[1,0] op_sel_hi:[0,0]
	v_pk_fma_f32 v[80:81], v[34:35], s[16:17], v[38:39] op_sel_hi:[1,0,1]
	v_pk_fma_f32 v[86:87], v[34:35], s[16:17], v[38:39] op_sel_hi:[1,0,1] neg_lo:[0,0,1] neg_hi:[0,0,1]
	v_mov_b32_e32 v38, v80
	v_mov_b32_e32 v39, v87
	s_mov_b32 s40, 0x3f29c268
	v_pk_add_f32 v[22:23], v[38:39], v[22:23]
	s_mov_b32 s26, 0xbf3f9e67
	v_pk_mul_f32 v[38:39], v[96:97], s[40:41] op_sel:[1,0] op_sel_hi:[0,0]
	v_pk_fma_f32 v[72:73], v[34:35], s[26:27], v[38:39] op_sel_hi:[1,0,1]
	v_pk_fma_f32 v[74:75], v[34:35], s[26:27], v[38:39] op_sel_hi:[1,0,1] neg_lo:[0,0,1] neg_hi:[0,0,1]
	v_mov_b32_e32 v38, v72
	v_mov_b32_e32 v39, v75
	s_mov_b32 s34, 0xbf29c268
	v_pk_add_f32 v[102:103], v[10:11], v[16:17] neg_lo:[0,1] neg_hi:[0,1]
	v_pk_add_f32 v[38:39], v[38:39], v[36:37]
	v_pk_add_f32 v[36:37], v[16:17], v[10:11]
	v_pk_mul_f32 v[68:69], v[102:103], s[34:35] op_sel:[1,0] op_sel_hi:[0,0]
	v_pk_fma_f32 v[92:93], v[36:37], s[26:27], v[68:69] op_sel_hi:[1,0,1]
	v_pk_fma_f32 v[94:95], v[36:37], s[26:27], v[68:69] op_sel_hi:[1,0,1] neg_lo:[0,0,1] neg_hi:[0,0,1]
	v_mov_b32_e32 v68, v92
	v_mov_b32_e32 v69, v95
	s_mov_b32 s30, 0x3f7e222b
	v_pk_add_f32 v[22:23], v[68:69], v[22:23]
	v_pk_mul_f32 v[68:69], v[102:103], s[30:31] op_sel:[1,0] op_sel_hi:[0,0]
	v_pk_fma_f32 v[82:83], v[36:37], s[20:21], v[68:69] op_sel_hi:[1,0,1]
	v_pk_fma_f32 v[84:85], v[36:37], s[20:21], v[68:69] op_sel_hi:[1,0,1] neg_lo:[0,0,1] neg_hi:[0,0,1]
	v_mov_b32_e32 v68, v82
	v_mov_b32_e32 v69, v85
	v_pk_add_f32 v[104:105], v[4:5], v[6:7] neg_lo:[0,1] neg_hi:[0,1]
	v_pk_add_f32 v[106:107], v[68:69], v[38:39]
	v_pk_add_f32 v[38:39], v[6:7], v[4:5]
	v_pk_mul_f32 v[68:69], v[104:105], s[28:29] op_sel:[1,0] op_sel_hi:[0,0]
	v_pk_fma_f32 v[98:99], v[38:39], s[24:25], v[68:69] op_sel_hi:[1,0,1]
	v_pk_fma_f32 v[100:101], v[38:39], s[24:25], v[68:69] op_sel_hi:[1,0,1] neg_lo:[0,0,1] neg_hi:[0,0,1]
	v_mov_b32_e32 v68, v98
	v_mov_b32_e32 v69, v101
	s_mov_b32 s36, 0x3eedf032
	v_pk_add_f32 v[68:69], v[68:69], v[22:23]
	v_pk_mul_f32 v[22:23], v[104:105], s[36:37] op_sel:[1,0] op_sel_hi:[0,0]
	v_pk_fma_f32 v[88:89], v[38:39], s[14:15], v[22:23] op_sel_hi:[1,0,1]
	v_pk_fma_f32 v[90:91], v[38:39], s[14:15], v[22:23] op_sel_hi:[1,0,1] neg_lo:[0,0,1] neg_hi:[0,0,1]
	v_mov_b32_e32 v22, v88
	v_mov_b32_e32 v23, v91
	v_pk_add_f32 v[22:23], v[22:23], v[106:107]
	v_mul_lo_u16_e32 v106, 13, v67
	s_barrier
	s_and_saveexec_b64 s[0:1], s[2:3]
	s_cbranch_execz .LBB0_7
; %bb.6:
	v_pk_add_f32 v[2:3], v[2:3], v[0:1]
	v_mov_b32_e32 v53, v51
	v_pk_add_f32 v[2:3], v[24:25], v[2:3]
	v_mov_b32_e32 v59, v57
	;; [unrolled: 2-line block ×6, first 2 shown]
	v_pk_add_f32 v[2:3], v[6:7], v[2:3]
	v_lshlrev_b32_e32 v65, 3, v106
	v_pk_add_f32 v[2:3], v[16:17], v[2:3]
	v_mov_b32_e32 v4, v55
	v_pk_add_f32 v[2:3], v[18:19], v[2:3]
	v_mov_b32_e32 v5, v54
	v_pk_add_f32 v[2:3], v[12:13], v[2:3]
	v_pk_add_f32 v[12:13], v[52:53], v[0:1]
	;; [unrolled: 1-line block ×6, first 2 shown]
	v_pk_mul_f32 v[24:25], v[4:5], s[28:29] op_sel_hi:[1,0]
	v_pk_add_f32 v[12:13], v[86:87], v[12:13]
	v_pk_fma_f32 v[26:27], v[28:29], s[24:25], v[24:25] op_sel_hi:[1,0,1] neg_lo:[0,0,1] neg_hi:[0,0,1]
	v_pk_add_f32 v[12:13], v[94:95], v[12:13]
	v_pk_fma_f32 v[24:25], v[28:29], s[24:25], v[24:25] op_sel_hi:[1,0,1]
	v_pk_add_f32 v[12:13], v[100:101], v[12:13]
	ds_write2_b64 v65, v[2:3], v[12:13] offset1:1
	v_pk_mul_f32 v[12:13], v[32:33], s[38:39] op_sel_hi:[1,0]
	v_mov_b32_e32 v6, v79
	v_pk_fma_f32 v[14:15], v[30:31], s[20:21], v[12:13] op_sel:[0,0,1] op_sel_hi:[1,0,0] neg_lo:[0,0,1] neg_hi:[0,0,1]
	v_pk_fma_f32 v[12:13], v[30:31], s[20:21], v[12:13] op_sel:[0,0,1] op_sel_hi:[1,0,0]
	v_mov_b32_e32 v18, v14
	v_mov_b32_e32 v19, v13
	;; [unrolled: 1-line block ×3, first 2 shown]
	v_pk_add_f32 v[18:19], v[18:19], v[0:1]
	v_mov_b32_e32 v40, v26
	v_mov_b32_e32 v41, v25
	s_mov_b32 s42, 0x3f6f5d39
	v_pk_add_f32 v[18:19], v[40:41], v[18:19]
	v_pk_mul_f32 v[40:41], v[6:7], s[42:43] op_sel_hi:[1,0]
	v_mov_b32_e32 v45, v43
	v_pk_fma_f32 v[42:43], v[20:21], s[16:17], v[40:41] op_sel_hi:[1,0,1] neg_lo:[0,0,1] neg_hi:[0,0,1]
	v_pk_fma_f32 v[40:41], v[20:21], s[16:17], v[40:41] op_sel_hi:[1,0,1]
	v_mov_b32_e32 v8, v97
	v_mov_b32_e32 v9, v96
	v_pk_add_f32 v[2:3], v[44:45], v[0:1]
	v_mov_b32_e32 v44, v42
	v_mov_b32_e32 v45, v41
	v_pk_add_f32 v[18:19], v[44:45], v[18:19]
	v_pk_mul_f32 v[44:45], v[8:9], s[36:37] op_sel_hi:[1,0]
	v_mov_b32_e32 v49, v47
	v_pk_fma_f32 v[46:47], v[34:35], s[14:15], v[44:45] op_sel_hi:[1,0,1] neg_lo:[0,0,1] neg_hi:[0,0,1]
	v_pk_fma_f32 v[44:45], v[34:35], s[14:15], v[44:45] op_sel_hi:[1,0,1]
	v_mov_b32_e32 v10, v103
	v_mov_b32_e32 v11, v102
	v_pk_add_f32 v[2:3], v[48:49], v[2:3]
	v_mov_b32_e32 v48, v46
	v_mov_b32_e32 v49, v45
	v_pk_add_f32 v[18:19], v[48:49], v[18:19]
	v_pk_mul_f32 v[48:49], v[10:11], s[22:23] op_sel_hi:[1,0]
	v_mov_b32_e32 v16, v105
	v_pk_fma_f32 v[50:51], v[36:37], s[6:7], v[48:49] op_sel_hi:[1,0,1] neg_lo:[0,0,1] neg_hi:[0,0,1]
	v_pk_fma_f32 v[48:49], v[36:37], s[6:7], v[48:49] op_sel_hi:[1,0,1]
	v_mov_b32_e32 v17, v104
	v_mov_b32_e32 v63, v61
	;; [unrolled: 1-line block ×4, first 2 shown]
	v_pk_add_f32 v[2:3], v[62:63], v[2:3]
	v_mov_b32_e32 v75, v73
	v_pk_add_f32 v[18:19], v[52:53], v[18:19]
	v_pk_mul_f32 v[52:53], v[16:17], s[34:35] op_sel_hi:[1,0]
	v_pk_add_f32 v[2:3], v[74:75], v[2:3]
	v_mov_b32_e32 v85, v83
	v_pk_fma_f32 v[54:55], v[38:39], s[26:27], v[52:53] op_sel_hi:[1,0,1] neg_lo:[0,0,1] neg_hi:[0,0,1]
	v_pk_fma_f32 v[52:53], v[38:39], s[26:27], v[52:53] op_sel_hi:[1,0,1]
	v_pk_add_f32 v[2:3], v[84:85], v[2:3]
	v_mov_b32_e32 v91, v89
	v_mov_b32_e32 v56, v54
	;; [unrolled: 1-line block ×3, first 2 shown]
	v_pk_add_f32 v[2:3], v[90:91], v[2:3]
	v_pk_add_f32 v[18:19], v[56:57], v[18:19]
	ds_write2_b64 v65, v[2:3], v[18:19] offset0:2 offset1:3
	v_pk_mul_f32 v[2:3], v[32:33], s[18:19] op_sel_hi:[1,0]
	v_pk_mul_f32 v[58:59], v[4:5], s[40:41] op_sel_hi:[1,0]
	v_pk_fma_f32 v[18:19], v[30:31], s[16:17], v[2:3] op_sel:[0,0,1] op_sel_hi:[1,0,0] neg_lo:[0,0,1] neg_hi:[0,0,1]
	v_pk_fma_f32 v[2:3], v[30:31], s[16:17], v[2:3] op_sel:[0,0,1] op_sel_hi:[1,0,0]
	v_mov_b32_e32 v56, v18
	v_mov_b32_e32 v57, v3
	v_pk_fma_f32 v[60:61], v[28:29], s[26:27], v[58:59] op_sel_hi:[1,0,1] neg_lo:[0,0,1] neg_hi:[0,0,1]
	v_pk_fma_f32 v[58:59], v[28:29], s[26:27], v[58:59] op_sel_hi:[1,0,1]
	v_pk_add_f32 v[56:57], v[56:57], v[0:1]
	v_mov_b32_e32 v62, v60
	v_mov_b32_e32 v63, v59
	v_pk_add_f32 v[56:57], v[62:63], v[56:57]
	v_pk_mul_f32 v[62:63], v[6:7], s[36:37] op_sel_hi:[1,0]
	s_mov_b32 s40, 0x3f52af12
	v_pk_fma_f32 v[70:71], v[20:21], s[14:15], v[62:63] op_sel_hi:[1,0,1] neg_lo:[0,0,1] neg_hi:[0,0,1]
	v_pk_fma_f32 v[62:63], v[20:21], s[14:15], v[62:63] op_sel_hi:[1,0,1]
	v_mov_b32_e32 v72, v70
	v_mov_b32_e32 v73, v63
	v_pk_add_f32 v[56:57], v[72:73], v[56:57]
	v_pk_mul_f32 v[72:73], v[8:9], s[38:39] op_sel_hi:[1,0]
	s_mov_b32 s38, 0x3e750f2a
	v_pk_fma_f32 v[74:75], v[34:35], s[20:21], v[72:73] op_sel_hi:[1,0,1] neg_lo:[0,0,1] neg_hi:[0,0,1]
	v_pk_fma_f32 v[72:73], v[34:35], s[20:21], v[72:73] op_sel_hi:[1,0,1]
	v_mov_b32_e32 v76, v74
	v_mov_b32_e32 v77, v73
	v_pk_add_f32 v[56:57], v[76:77], v[56:57]
	v_pk_mul_f32 v[76:77], v[10:11], s[38:39] op_sel_hi:[1,0]
	v_pk_mul_f32 v[90:91], v[4:5], s[30:31] op_sel_hi:[1,0]
	v_pk_fma_f32 v[78:79], v[36:37], s[24:25], v[76:77] op_sel_hi:[1,0,1] neg_lo:[0,0,1] neg_hi:[0,0,1]
	v_pk_fma_f32 v[76:77], v[36:37], s[24:25], v[76:77] op_sel_hi:[1,0,1]
	v_mov_b32_e32 v80, v78
	v_mov_b32_e32 v81, v77
	v_pk_add_f32 v[56:57], v[80:81], v[56:57]
	v_pk_mul_f32 v[80:81], v[16:17], s[40:41] op_sel_hi:[1,0]
	v_pk_fma_f32 v[92:93], v[28:29], s[20:21], v[90:91] op_sel_hi:[1,0,1] neg_lo:[0,0,1] neg_hi:[0,0,1]
	v_pk_fma_f32 v[82:83], v[38:39], s[6:7], v[80:81] op_sel_hi:[1,0,1] neg_lo:[0,0,1] neg_hi:[0,0,1]
	v_pk_fma_f32 v[80:81], v[38:39], s[6:7], v[80:81] op_sel_hi:[1,0,1]
	v_mov_b32_e32 v84, v82
	v_mov_b32_e32 v85, v81
	v_pk_add_f32 v[56:57], v[84:85], v[56:57]
	v_pk_mul_f32 v[84:85], v[32:33], s[34:35] op_sel_hi:[1,0]
	v_pk_fma_f32 v[90:91], v[28:29], s[20:21], v[90:91] op_sel_hi:[1,0,1]
	v_pk_fma_f32 v[86:87], v[30:31], s[26:27], v[84:85] op_sel:[0,0,1] op_sel_hi:[1,0,0] neg_lo:[0,0,1] neg_hi:[0,0,1]
	v_pk_fma_f32 v[84:85], v[30:31], s[26:27], v[84:85] op_sel:[0,0,1] op_sel_hi:[1,0,0]
	v_mov_b32_e32 v88, v86
	v_mov_b32_e32 v89, v85
	v_pk_add_f32 v[88:89], v[88:89], v[0:1]
	v_mov_b32_e32 v94, v92
	v_mov_b32_e32 v95, v91
	v_pk_add_f32 v[88:89], v[94:95], v[88:89]
	v_pk_mul_f32 v[94:95], v[6:7], s[22:23] op_sel_hi:[1,0]
	v_pk_mul_f32 v[32:33], v[32:33], s[28:29] op_sel_hi:[1,0]
	v_pk_fma_f32 v[96:97], v[20:21], s[6:7], v[94:95] op_sel_hi:[1,0,1] neg_lo:[0,0,1] neg_hi:[0,0,1]
	v_pk_fma_f32 v[94:95], v[20:21], s[6:7], v[94:95] op_sel_hi:[1,0,1]
	v_mov_b32_e32 v98, v96
	v_mov_b32_e32 v99, v95
	v_pk_add_f32 v[88:89], v[98:99], v[88:89]
	v_pk_mul_f32 v[98:99], v[8:9], s[38:39] op_sel_hi:[1,0]
	v_pk_mul_f32 v[4:5], v[4:5], s[36:37] op_sel_hi:[1,0]
	v_pk_fma_f32 v[100:101], v[34:35], s[24:25], v[98:99] op_sel_hi:[1,0,1] neg_lo:[0,0,1] neg_hi:[0,0,1]
	v_pk_fma_f32 v[98:99], v[34:35], s[24:25], v[98:99] op_sel_hi:[1,0,1]
	;; [unrolled: 7-line block ×4, first 2 shown]
	v_mov_b32_e32 v112, v110
	v_mov_b32_e32 v113, v109
	v_pk_add_f32 v[88:89], v[112:113], v[88:89]
	ds_write2_b64 v65, v[56:57], v[88:89] offset0:4 offset1:5
	v_pk_fma_f32 v[56:57], v[30:31], s[24:25], v[32:33] op_sel:[0,0,1] op_sel_hi:[1,0,0] neg_lo:[0,0,1] neg_hi:[0,0,1]
	v_pk_fma_f32 v[30:31], v[30:31], s[24:25], v[32:33] op_sel:[0,0,1] op_sel_hi:[1,0,0]
	v_pk_fma_f32 v[32:33], v[28:29], s[14:15], v[4:5] op_sel_hi:[1,0,1] neg_lo:[0,0,1] neg_hi:[0,0,1]
	v_pk_fma_f32 v[4:5], v[28:29], s[14:15], v[4:5] op_sel_hi:[1,0,1]
	v_mov_b32_e32 v28, v56
	v_mov_b32_e32 v29, v31
	v_pk_add_f32 v[28:29], v[28:29], v[0:1]
	v_mov_b32_e32 v88, v32
	v_mov_b32_e32 v89, v5
	v_pk_add_f32 v[28:29], v[88:89], v[28:29]
	v_pk_fma_f32 v[88:89], v[20:21], s[26:27], v[6:7] op_sel_hi:[1,0,1] neg_lo:[0,0,1] neg_hi:[0,0,1]
	v_pk_fma_f32 v[6:7], v[20:21], s[26:27], v[6:7] op_sel_hi:[1,0,1]
	v_mov_b32_e32 v20, v88
	v_mov_b32_e32 v21, v7
	v_pk_add_f32 v[20:21], v[20:21], v[28:29]
	v_pk_fma_f32 v[28:29], v[34:35], s[6:7], v[8:9] op_sel_hi:[1,0,1] neg_lo:[0,0,1] neg_hi:[0,0,1]
	v_pk_fma_f32 v[8:9], v[34:35], s[6:7], v[8:9] op_sel_hi:[1,0,1]
	v_mov_b32_e32 v31, v57
	v_mov_b32_e32 v34, v28
	;; [unrolled: 1-line block ×3, first 2 shown]
	v_pk_mul_f32 v[10:11], v[10:11], s[18:19] op_sel_hi:[1,0]
	v_mov_b32_e32 v5, v33
	v_pk_add_f32 v[30:31], v[30:31], v[0:1]
	v_pk_add_f32 v[20:21], v[34:35], v[20:21]
	v_pk_fma_f32 v[34:35], v[36:37], s[16:17], v[10:11] op_sel_hi:[1,0,1] neg_lo:[0,0,1] neg_hi:[0,0,1]
	v_pk_fma_f32 v[10:11], v[36:37], s[16:17], v[10:11] op_sel_hi:[1,0,1]
	v_pk_add_f32 v[4:5], v[4:5], v[30:31]
	v_mov_b32_e32 v7, v89
	v_mov_b32_e32 v36, v34
	;; [unrolled: 1-line block ×3, first 2 shown]
	v_pk_mul_f32 v[16:17], v[16:17], s[30:31] op_sel_hi:[1,0]
	v_pk_add_f32 v[4:5], v[6:7], v[4:5]
	v_mov_b32_e32 v9, v29
	v_pk_add_f32 v[20:21], v[36:37], v[20:21]
	v_pk_fma_f32 v[36:37], v[38:39], s[20:21], v[16:17] op_sel_hi:[1,0,1] neg_lo:[0,0,1] neg_hi:[0,0,1]
	v_pk_fma_f32 v[16:17], v[38:39], s[20:21], v[16:17] op_sel_hi:[1,0,1]
	v_pk_add_f32 v[4:5], v[8:9], v[4:5]
	v_mov_b32_e32 v11, v35
	v_mov_b32_e32 v38, v36
	;; [unrolled: 1-line block ×3, first 2 shown]
	v_pk_add_f32 v[4:5], v[10:11], v[4:5]
	v_mov_b32_e32 v17, v37
	v_pk_add_f32 v[20:21], v[38:39], v[20:21]
	v_pk_add_f32 v[4:5], v[16:17], v[4:5]
	v_mov_b32_e32 v85, v87
	v_mov_b32_e32 v3, v19
	v_mov_b32_e32 v13, v15
	ds_write2_b64 v65, v[20:21], v[4:5] offset0:6 offset1:7
	v_pk_add_f32 v[4:5], v[84:85], v[0:1]
	v_mov_b32_e32 v91, v93
	v_pk_add_f32 v[2:3], v[2:3], v[0:1]
	v_mov_b32_e32 v59, v61
	;; [unrolled: 2-line block ×15, first 2 shown]
	v_pk_add_f32 v[4:5], v[108:109], v[4:5]
	v_pk_add_f32 v[2:3], v[80:81], v[2:3]
	;; [unrolled: 1-line block ×3, first 2 shown]
	ds_write2_b64 v65, v[4:5], v[2:3] offset0:8 offset1:9
	ds_write2_b64 v65, v[0:1], v[22:23] offset0:10 offset1:11
	ds_write_b64 v65, v[68:69] offset:96
.LBB0_7:
	s_or_b64 exec, exec, s[0:1]
	s_movk_i32 s0, 0x4f
	v_mul_lo_u16_sdwa v0, v67, s0 dst_sel:DWORD dst_unused:UNUSED_PAD src0_sel:BYTE_0 src1_sel:DWORD
	v_lshrrev_b16_e32 v44, 10, v0
	v_mul_lo_u16_e32 v0, 13, v44
	v_sub_u16_e32 v0, v67, v0
	v_and_b32_e32 v45, 0xff, v0
	v_mul_u32_u24_e32 v0, 10, v45
	v_lshlrev_b32_e32 v20, 3, v0
	s_load_dwordx4 s[4:7], s[4:5], 0x0
	s_waitcnt lgkmcnt(0)
	s_barrier
	global_load_dwordx4 v[0:3], v20, s[10:11]
	global_load_dwordx4 v[16:19], v20, s[10:11] offset:16
	global_load_dwordx4 v[12:15], v20, s[10:11] offset:32
	;; [unrolled: 1-line block ×4, first 2 shown]
	ds_read2_b64 v[24:27], v64 offset1:143
	v_add_u32_e32 v65, 0x800, v64
	v_add_u32_e32 v72, 0x1000, v64
	;; [unrolled: 1-line block ×4, first 2 shown]
	ds_read_b64 v[20:21], v64 offset:11440
	ds_read2_b64 v[28:31], v65 offset0:30 offset1:173
	ds_read2_b64 v[32:35], v72 offset0:60 offset1:203
	;; [unrolled: 1-line block ×4, first 2 shown]
	v_mul_u32_u24_e32 v44, 0x8f, v44
	v_add_lshl_u32 v148, v44, v45, 3
	s_mov_b32 s14, 0xbf0a6770
	s_mov_b32 s15, 0x3f575c64
	s_mov_b32 s40, s15
	s_mov_b32 s41, s14
	s_mov_b32 s30, 0xbf68dda4
	s_mov_b32 s31, 0x3ed4b147
	s_mov_b32 s34, s31
	s_mov_b32 s35, s30
	s_mov_b32 s0, 0xbf7d64f0
	s_mov_b32 s1, 0xbe11bafb
	s_mov_b32 s26, s1
	s_mov_b32 s27, s0
	s_mov_b32 s16, 0xbf4178ce
	s_mov_b32 s17, 0xbf27a4f4
	s_mov_b32 s36, s17
	s_mov_b32 s37, s16
	s_mov_b32 s28, 0xbe903f40
	s_mov_b32 s29, 0xbf75a155
	s_mov_b32 s38, s29
	s_mov_b32 s39, s28
	s_waitcnt lgkmcnt(0)
	s_barrier
	s_mov_b32 s18, 0x3e903f40
	s_mov_b32 s20, s29
	;; [unrolled: 1-line block ×13, first 2 shown]
	s_waitcnt vmcnt(4)
	v_mov_b32_e32 v44, v1
	v_pk_mul_f32 v[46:47], v[26:27], v[0:1] op_sel:[1,0] op_sel_hi:[0,1]
	s_waitcnt vmcnt(3)
	v_pk_mul_f32 v[48:49], v[30:31], v[16:17] op_sel:[0,1]
	v_mov_b32_e32 v50, v19
	v_mov_b32_e32 v46, v3
	s_waitcnt vmcnt(2)
	v_pk_mul_f32 v[52:53], v[34:35], v[12:13] op_sel:[0,1]
	v_mov_b32_e32 v54, v15
	s_waitcnt vmcnt(1)
	v_pk_mul_f32 v[56:57], v[38:39], v[4:5] op_sel:[0,1]
	;; [unrolled: 3-line block ×3, first 2 shown]
	v_mov_b32_e32 v62, v11
	v_pk_mul_f32 v[44:45], v[26:27], v[44:45] op_sel:[1,0] op_sel_hi:[0,1]
	v_mov_b32_e32 v70, v47
	v_pk_fma_f32 v[76:77], v[30:31], v[16:17], v[48:49] op_sel:[0,0,1] op_sel_hi:[1,1,0] neg_lo:[0,0,1] neg_hi:[0,0,1]
	v_pk_fma_f32 v[30:31], v[30:31], v[16:17], v[48:49] op_sel:[0,0,1] op_sel_hi:[1,0,0]
	v_pk_mul_f32 v[48:49], v[32:33], v[50:51] op_sel_hi:[1,0]
	v_pk_mul_f32 v[46:47], v[28:29], v[46:47] op_sel_hi:[1,0]
	v_pk_fma_f32 v[50:51], v[34:35], v[12:13], v[52:53] op_sel:[0,0,1] op_sel_hi:[1,1,0] neg_lo:[0,0,1] neg_hi:[0,0,1]
	v_pk_fma_f32 v[34:35], v[34:35], v[12:13], v[52:53] op_sel:[0,0,1] op_sel_hi:[1,0,0]
	v_pk_mul_f32 v[52:53], v[36:37], v[54:55] op_sel_hi:[1,0]
	v_pk_fma_f32 v[54:55], v[38:39], v[4:5], v[56:57] op_sel:[0,0,1] op_sel_hi:[1,1,0] neg_lo:[0,0,1] neg_hi:[0,0,1]
	v_pk_fma_f32 v[38:39], v[38:39], v[4:5], v[56:57] op_sel:[0,0,1] op_sel_hi:[1,0,0]
	;; [unrolled: 3-line block ×3, first 2 shown]
	v_pk_mul_f32 v[60:61], v[20:21], v[62:63] op_sel_hi:[1,0]
	v_pk_fma_f32 v[44:45], v[26:27], v[0:1], v[44:45] neg_lo:[0,0,1] neg_hi:[0,0,1]
	v_pk_fma_f32 v[26:27], v[26:27], v[0:1], v[70:71] op_sel:[1,0,0] op_sel_hi:[0,1,1]
	v_mov_b32_e32 v77, v31
	v_pk_fma_f32 v[30:31], v[32:33], v[18:19], v[48:49] op_sel:[0,0,1] op_sel_hi:[1,1,0] neg_lo:[0,0,1] neg_hi:[0,0,1]
	v_pk_fma_f32 v[32:33], v[32:33], v[18:19], v[48:49] op_sel:[0,0,1] op_sel_hi:[1,0,0]
	v_pk_fma_f32 v[62:63], v[28:29], v[2:3], v[46:47] op_sel:[0,0,1] op_sel_hi:[1,1,0] neg_lo:[0,0,1] neg_hi:[0,0,1]
	v_pk_fma_f32 v[28:29], v[28:29], v[2:3], v[46:47] op_sel:[0,0,1] op_sel_hi:[1,0,0]
	v_mov_b32_e32 v51, v35
	v_pk_fma_f32 v[34:35], v[36:37], v[14:15], v[52:53] op_sel:[0,0,1] op_sel_hi:[1,1,0] neg_lo:[0,0,1] neg_hi:[0,0,1]
	v_pk_fma_f32 v[36:37], v[36:37], v[14:15], v[52:53] op_sel:[0,0,1] op_sel_hi:[1,0,0]
	v_mov_b32_e32 v59, v43
	;; [unrolled: 3-line block ×3, first 2 shown]
	v_mov_b32_e32 v32, v44
	v_mov_b32_e32 v33, v26
	;; [unrolled: 1-line block ×6, first 2 shown]
	v_pk_add_f32 v[32:33], v[24:25], v[32:33]
	v_mov_b32_e32 v55, v39
	v_pk_fma_f32 v[38:39], v[40:41], v[6:7], v[56:57] op_sel:[0,0,1] op_sel_hi:[1,1,0] neg_lo:[0,0,1] neg_hi:[0,0,1]
	v_pk_fma_f32 v[40:41], v[40:41], v[6:7], v[56:57] op_sel:[0,0,1] op_sel_hi:[1,0,0]
	v_pk_add_f32 v[56:57], v[26:27], v[36:37] neg_lo:[0,1] neg_hi:[0,1]
	v_pk_add_f32 v[26:27], v[32:33], v[62:63]
	v_mov_b32_e32 v39, v41
	v_pk_add_f32 v[26:27], v[26:27], v[76:77]
	v_pk_add_f32 v[52:53], v[44:45], v[42:43]
	;; [unrolled: 1-line block ×3, first 2 shown]
	v_pk_add_f32 v[40:41], v[44:45], v[42:43] neg_lo:[0,1] neg_hi:[0,1]
	v_pk_add_f32 v[26:27], v[26:27], v[50:51]
	v_mov_b32_e32 v28, v42
	v_pk_add_f32 v[26:27], v[26:27], v[34:35]
	v_mov_b32_e32 v29, v21
	v_pk_add_f32 v[26:27], v[26:27], v[54:55]
	v_pk_add_f32 v[20:21], v[36:37], v[20:21]
	;; [unrolled: 1-line block ×3, first 2 shown]
	v_mov_b32_e32 v53, v40
	v_pk_add_f32 v[26:27], v[26:27], v[58:59]
	v_pk_add_f32 v[78:79], v[30:31], v[54:55]
	v_pk_add_f32 v[44:45], v[30:31], v[54:55] neg_lo:[0,1] neg_hi:[0,1]
	v_pk_add_f32 v[54:55], v[26:27], v[28:29]
	v_mov_b32_e32 v20, v56
	v_pk_mul_f32 v[28:29], v[52:53], s[40:41]
	v_pk_add_f32 v[60:61], v[62:63], v[58:59]
	v_pk_fma_f32 v[30:31], v[56:57], s[14:15], v[28:29] neg_lo:[1,0,0] neg_hi:[1,0,0]
	v_pk_fma_f32 v[26:27], v[20:21], s[14:15], v[28:29]
	v_pk_add_f32 v[36:37], v[62:63], v[58:59] neg_lo:[0,1] neg_hi:[0,1]
	v_mov_b32_e32 v31, v27
	v_pk_add_f32 v[70:71], v[76:77], v[38:39]
	v_pk_add_f32 v[42:43], v[76:77], v[38:39] neg_lo:[0,1] neg_hi:[0,1]
	v_pk_add_f32 v[38:39], v[24:25], v[30:31]
	v_mov_b32_e32 v31, v61
	v_mov_b32_e32 v61, v36
	v_pk_add_f32 v[80:81], v[50:51], v[34:35]
	v_pk_add_f32 v[50:51], v[50:51], v[34:35] neg_lo:[0,1] neg_hi:[0,1]
	v_mov_b32_e32 v30, v37
	v_pk_mul_f32 v[34:35], v[60:61], s[34:35]
	v_pk_mul_f32 v[82:83], v[60:61], s[36:37]
	v_pk_fma_f32 v[36:37], v[30:31], s[30:31], v[34:35] neg_lo:[1,0,0] neg_hi:[1,0,0]
	v_pk_fma_f32 v[32:33], v[30:31], s[30:31], v[34:35]
	v_pk_fma_f32 v[84:85], v[30:31], s[16:17], v[82:83] neg_lo:[1,0,0] neg_hi:[1,0,0]
	v_mov_b32_e32 v37, v33
	v_pk_add_f32 v[46:47], v[36:37], v[38:39]
	v_mov_b32_e32 v37, v71
	v_mov_b32_e32 v71, v42
	;; [unrolled: 1-line block ×3, first 2 shown]
	v_pk_mul_f32 v[40:41], v[70:71], s[26:27]
	v_pk_fma_f32 v[86:87], v[30:31], s[16:17], v[82:83]
	v_pk_fma_f32 v[42:43], v[36:37], s[0:1], v[40:41] neg_lo:[1,0,0] neg_hi:[1,0,0]
	v_pk_fma_f32 v[38:39], v[36:37], s[0:1], v[40:41]
	v_mov_b32_e32 v85, v87
	v_mov_b32_e32 v43, v39
	v_pk_add_f32 v[48:49], v[42:43], v[46:47]
	v_mov_b32_e32 v43, v79
	v_mov_b32_e32 v79, v44
	;; [unrolled: 1-line block ×3, first 2 shown]
	v_pk_mul_f32 v[46:47], v[78:79], s[36:37]
	v_pk_mul_f32 v[104:105], v[60:61], s[20:21]
	v_pk_fma_f32 v[58:59], v[42:43], s[16:17], v[46:47] neg_lo:[1,0,0] neg_hi:[1,0,0]
	v_pk_fma_f32 v[44:45], v[42:43], s[16:17], v[46:47]
	v_pk_fma_f32 v[108:109], v[30:31], s[18:19], v[104:105] neg_lo:[1,0,0] neg_hi:[1,0,0]
	v_mov_b32_e32 v59, v45
	v_pk_add_f32 v[58:59], v[58:59], v[48:49]
	v_mov_b32_e32 v49, v81
	v_mov_b32_e32 v81, v50
	v_mov_b32_e32 v48, v51
	v_pk_mul_f32 v[50:51], v[80:81], s[38:39]
	v_pk_fma_f32 v[110:111], v[30:31], s[18:19], v[104:105]
	v_pk_fma_f32 v[62:63], v[48:49], s[28:29], v[50:51] neg_lo:[1,0,0] neg_hi:[1,0,0]
	v_pk_fma_f32 v[76:77], v[48:49], s[28:29], v[50:51]
	v_mov_b32_e32 v109, v111
	v_mov_b32_e32 v63, v77
	v_pk_add_f32 v[58:59], v[62:63], v[58:59]
	ds_write2_b64 v148, v[54:55], v[58:59] offset1:13
	v_pk_mul_f32 v[54:55], v[52:53], s[34:35]
	v_pk_mul_f32 v[124:125], v[60:61], s[42:43]
	v_pk_fma_f32 v[58:59], v[56:57], s[30:31], v[54:55] neg_lo:[1,0,0] neg_hi:[1,0,0]
	v_pk_fma_f32 v[62:63], v[20:21], s[30:31], v[54:55]
	v_pk_fma_f32 v[126:127], v[30:31], s[24:25], v[124:125] neg_lo:[1,0,0] neg_hi:[1,0,0]
	v_mov_b32_e32 v59, v63
	v_pk_add_f32 v[58:59], v[24:25], v[58:59]
	v_pk_fma_f32 v[128:129], v[30:31], s[24:25], v[124:125]
	v_pk_add_f32 v[58:59], v[84:85], v[58:59]
	v_pk_mul_f32 v[84:85], v[70:71], s[20:21]
	s_mov_b32 s20, 0x3f68dda4
	v_pk_fma_f32 v[88:89], v[36:37], s[18:19], v[84:85] neg_lo:[1,0,0] neg_hi:[1,0,0]
	v_pk_fma_f32 v[90:91], v[36:37], s[18:19], v[84:85]
	s_mov_b32 s47, s20
	v_mov_b32_e32 v89, v91
	v_pk_add_f32 v[58:59], v[88:89], v[58:59]
	v_pk_mul_f32 v[88:89], v[78:79], s[42:43]
	s_mov_b32 s21, s31
	v_pk_fma_f32 v[92:93], v[42:43], s[24:25], v[88:89] neg_lo:[1,0,0] neg_hi:[1,0,0]
	v_pk_fma_f32 v[94:95], v[42:43], s[24:25], v[88:89]
	v_mov_b32_e32 v127, v129
	v_mov_b32_e32 v93, v95
	v_pk_add_f32 v[58:59], v[92:93], v[58:59]
	v_pk_mul_f32 v[92:93], v[80:81], s[44:45]
	v_pk_mul_f32 v[60:61], v[60:61], s[44:45]
	v_pk_fma_f32 v[96:97], v[48:49], s[22:23], v[92:93] neg_lo:[1,0,0] neg_hi:[1,0,0]
	v_pk_fma_f32 v[98:99], v[48:49], s[22:23], v[92:93]
	v_pk_fma_f32 v[142:143], v[30:31], s[22:23], v[60:61] neg_lo:[1,0,0] neg_hi:[1,0,0]
	v_mov_b32_e32 v97, v99
	v_pk_add_f32 v[58:59], v[96:97], v[58:59]
	v_pk_mul_f32 v[96:97], v[52:53], s[26:27]
	v_pk_fma_f32 v[144:145], v[30:31], s[22:23], v[60:61]
	v_pk_fma_f32 v[100:101], v[56:57], s[0:1], v[96:97] neg_lo:[1,0,0] neg_hi:[1,0,0]
	v_pk_fma_f32 v[102:103], v[20:21], s[0:1], v[96:97]
	v_mov_b32_e32 v143, v145
	v_mov_b32_e32 v101, v103
	v_pk_add_f32 v[100:101], v[24:25], v[100:101]
	v_pk_fma_f32 v[54:55], v[20:21], s[30:31], v[54:55] neg_lo:[0,0,1] neg_hi:[0,0,1]
	v_pk_add_f32 v[100:101], v[108:109], v[100:101]
	v_pk_mul_f32 v[108:109], v[70:71], s[46:47]
	v_mov_b32_e32 v63, v55
	v_pk_fma_f32 v[112:113], v[36:37], s[20:21], v[108:109] neg_lo:[1,0,0] neg_hi:[1,0,0]
	v_pk_fma_f32 v[114:115], v[36:37], s[20:21], v[108:109]
	v_pk_add_f32 v[54:55], v[24:25], v[62:63]
	v_mov_b32_e32 v113, v115
	v_pk_add_f32 v[100:101], v[112:113], v[100:101]
	v_pk_mul_f32 v[112:113], v[78:79], s[40:41]
	s_mov_b32 s42, s15
	v_pk_fma_f32 v[116:117], v[42:43], s[14:15], v[112:113] neg_lo:[1,0,0] neg_hi:[1,0,0]
	v_pk_fma_f32 v[118:119], v[42:43], s[14:15], v[112:113]
	s_mov_b32 s44, s17
	v_mov_b32_e32 v117, v119
	v_pk_add_f32 v[100:101], v[116:117], v[100:101]
	v_pk_mul_f32 v[116:117], v[80:81], s[36:37]
	s_nop 0
	v_pk_fma_f32 v[120:121], v[48:49], s[16:17], v[116:117] neg_lo:[1,0,0] neg_hi:[1,0,0]
	v_pk_fma_f32 v[122:123], v[48:49], s[16:17], v[116:117]
	s_nop 0
	v_mov_b32_e32 v121, v123
	v_pk_add_f32 v[100:101], v[120:121], v[100:101]
	ds_write2_b64 v148, v[58:59], v[100:101] offset0:26 offset1:39
	v_pk_mul_f32 v[58:59], v[52:53], s[36:37]
	v_pk_mul_f32 v[52:53], v[52:53], s[38:39]
	v_pk_fma_f32 v[100:101], v[56:57], s[16:17], v[58:59] neg_lo:[1,0,0] neg_hi:[1,0,0]
	v_pk_fma_f32 v[120:121], v[20:21], s[16:17], v[58:59]
	v_pk_fma_f32 v[56:57], v[56:57], s[28:29], v[52:53] neg_lo:[1,0,0] neg_hi:[1,0,0]
	v_mov_b32_e32 v101, v121
	v_pk_add_f32 v[100:101], v[24:25], v[100:101]
	s_nop 0
	v_pk_add_f32 v[100:101], v[126:127], v[100:101]
	v_pk_mul_f32 v[126:127], v[70:71], s[40:41]
	v_pk_mul_f32 v[70:71], v[70:71], s[36:37]
	v_pk_fma_f32 v[130:131], v[36:37], s[14:15], v[126:127] neg_lo:[1,0,0] neg_hi:[1,0,0]
	v_pk_fma_f32 v[132:133], v[36:37], s[14:15], v[126:127]
	v_pk_fma_f32 v[146:147], v[36:37], s[16:17], v[70:71]
	v_mov_b32_e32 v131, v133
	v_pk_add_f32 v[100:101], v[130:131], v[100:101]
	v_pk_mul_f32 v[130:131], v[78:79], s[38:39]
	v_pk_mul_f32 v[78:79], v[78:79], s[46:47]
	v_pk_fma_f32 v[134:135], v[42:43], s[28:29], v[130:131] neg_lo:[1,0,0] neg_hi:[1,0,0]
	v_pk_fma_f32 v[136:137], v[42:43], s[28:29], v[130:131]
	v_pk_fma_f32 v[150:151], v[42:43], s[20:21], v[78:79]
	v_mov_b32_e32 v135, v137
	v_pk_add_f32 v[100:101], v[134:135], v[100:101]
	v_pk_mul_f32 v[134:135], v[80:81], s[46:47]
	v_pk_mul_f32 v[80:81], v[80:81], s[26:27]
	v_pk_fma_f32 v[138:139], v[48:49], s[20:21], v[134:135] neg_lo:[1,0,0] neg_hi:[1,0,0]
	v_pk_fma_f32 v[140:141], v[48:49], s[20:21], v[134:135]
	v_pk_fma_f32 v[152:153], v[48:49], s[0:1], v[80:81]
	v_mov_b32_e32 v139, v141
	v_pk_add_f32 v[100:101], v[138:139], v[100:101]
	v_pk_fma_f32 v[138:139], v[20:21], s[28:29], v[52:53]
	v_pk_fma_f32 v[52:53], v[20:21], s[28:29], v[52:53] neg_lo:[0,0,1] neg_hi:[0,0,1]
	v_mov_b32_e32 v57, v139
	v_pk_add_f32 v[56:57], v[24:25], v[56:57]
	v_mov_b32_e32 v139, v53
	v_pk_add_f32 v[56:57], v[142:143], v[56:57]
	v_pk_fma_f32 v[142:143], v[36:37], s[16:17], v[70:71] neg_lo:[1,0,0] neg_hi:[1,0,0]
	v_pk_fma_f32 v[52:53], v[30:31], s[22:23], v[60:61] neg_lo:[0,0,1] neg_hi:[0,0,1]
	v_mov_b32_e32 v143, v147
	v_pk_add_f32 v[56:57], v[142:143], v[56:57]
	v_pk_fma_f32 v[142:143], v[42:43], s[20:21], v[78:79] neg_lo:[1,0,0] neg_hi:[1,0,0]
	v_mov_b32_e32 v145, v53
	v_mov_b32_e32 v143, v151
	v_pk_add_f32 v[56:57], v[142:143], v[56:57]
	v_pk_fma_f32 v[142:143], v[48:49], s[0:1], v[80:81] neg_lo:[1,0,0] neg_hi:[1,0,0]
	v_pk_add_f32 v[52:53], v[24:25], v[138:139]
	v_mov_b32_e32 v143, v153
	v_pk_add_f32 v[56:57], v[142:143], v[56:57]
	ds_write2_b64 v148, v[100:101], v[56:57] offset0:52 offset1:65
	v_pk_fma_f32 v[56:57], v[36:37], s[16:17], v[70:71] neg_lo:[0,0,1] neg_hi:[0,0,1]
	v_pk_add_f32 v[52:53], v[144:145], v[52:53]
	v_mov_b32_e32 v147, v57
	v_pk_fma_f32 v[56:57], v[42:43], s[20:21], v[78:79] neg_lo:[0,0,1] neg_hi:[0,0,1]
	v_pk_add_f32 v[52:53], v[146:147], v[52:53]
	v_mov_b32_e32 v151, v57
	;; [unrolled: 3-line block ×3, first 2 shown]
	v_pk_fma_f32 v[56:57], v[20:21], s[16:17], v[58:59] neg_lo:[0,0,1] neg_hi:[0,0,1]
	v_pk_fma_f32 v[58:59], v[36:37], s[14:15], v[126:127] neg_lo:[0,0,1] neg_hi:[0,0,1]
	v_mov_b32_e32 v121, v57
	v_pk_fma_f32 v[56:57], v[30:31], s[24:25], v[124:125] neg_lo:[0,0,1] neg_hi:[0,0,1]
	v_mov_b32_e32 v133, v59
	v_mov_b32_e32 v129, v57
	v_pk_add_f32 v[56:57], v[24:25], v[120:121]
	v_pk_fma_f32 v[58:59], v[42:43], s[28:29], v[130:131] neg_lo:[0,0,1] neg_hi:[0,0,1]
	v_pk_add_f32 v[56:57], v[128:129], v[56:57]
	v_mov_b32_e32 v137, v59
	v_pk_add_f32 v[56:57], v[132:133], v[56:57]
	v_pk_fma_f32 v[58:59], v[48:49], s[20:21], v[134:135] neg_lo:[0,0,1] neg_hi:[0,0,1]
	v_pk_add_f32 v[56:57], v[136:137], v[56:57]
	v_mov_b32_e32 v141, v59
	v_pk_add_f32 v[52:53], v[152:153], v[52:53]
	v_pk_add_f32 v[56:57], v[140:141], v[56:57]
	ds_write2_b64 v148, v[52:53], v[56:57] offset0:78 offset1:91
	v_pk_fma_f32 v[52:53], v[20:21], s[0:1], v[96:97] neg_lo:[0,0,1] neg_hi:[0,0,1]
	v_pk_fma_f32 v[20:21], v[20:21], s[14:15], v[28:29] neg_lo:[0,0,1] neg_hi:[0,0,1]
	v_mov_b32_e32 v103, v53
	v_pk_fma_f32 v[52:53], v[30:31], s[18:19], v[104:105] neg_lo:[0,0,1] neg_hi:[0,0,1]
	v_pk_fma_f32 v[56:57], v[36:37], s[20:21], v[108:109] neg_lo:[0,0,1] neg_hi:[0,0,1]
	v_mov_b32_e32 v27, v21
	v_mov_b32_e32 v111, v53
	v_pk_add_f32 v[52:53], v[24:25], v[102:103]
	v_mov_b32_e32 v115, v57
	v_pk_fma_f32 v[56:57], v[42:43], s[14:15], v[112:113] neg_lo:[0,0,1] neg_hi:[0,0,1]
	v_pk_add_f32 v[20:21], v[24:25], v[26:27]
	v_pk_fma_f32 v[24:25], v[30:31], s[30:31], v[34:35] neg_lo:[0,0,1] neg_hi:[0,0,1]
	v_mov_b32_e32 v119, v57
	v_pk_fma_f32 v[56:57], v[48:49], s[16:17], v[116:117] neg_lo:[0,0,1] neg_hi:[0,0,1]
	v_mov_b32_e32 v33, v25
	;; [unrolled: 2-line block ×3, first 2 shown]
	v_pk_fma_f32 v[56:57], v[30:31], s[16:17], v[82:83] neg_lo:[0,0,1] neg_hi:[0,0,1]
	v_pk_add_f32 v[20:21], v[32:33], v[20:21]
	v_mov_b32_e32 v39, v25
	v_pk_fma_f32 v[24:25], v[42:43], s[16:17], v[46:47] neg_lo:[0,0,1] neg_hi:[0,0,1]
	v_mov_b32_e32 v87, v57
	v_pk_fma_f32 v[56:57], v[36:37], s[18:19], v[84:85] neg_lo:[0,0,1] neg_hi:[0,0,1]
	v_pk_add_f32 v[20:21], v[38:39], v[20:21]
	v_mov_b32_e32 v45, v25
	v_pk_fma_f32 v[24:25], v[48:49], s[28:29], v[50:51] neg_lo:[0,0,1] neg_hi:[0,0,1]
	v_pk_add_f32 v[52:53], v[110:111], v[52:53]
	v_pk_add_f32 v[54:55], v[86:87], v[54:55]
	v_mov_b32_e32 v91, v57
	v_pk_fma_f32 v[56:57], v[42:43], s[24:25], v[88:89] neg_lo:[0,0,1] neg_hi:[0,0,1]
	v_pk_add_f32 v[20:21], v[44:45], v[20:21]
	v_mov_b32_e32 v77, v25
	v_pk_add_f32 v[52:53], v[114:115], v[52:53]
	v_pk_add_f32 v[54:55], v[90:91], v[54:55]
	v_mov_b32_e32 v95, v57
	v_pk_fma_f32 v[56:57], v[48:49], s[22:23], v[92:93] neg_lo:[0,0,1] neg_hi:[0,0,1]
	v_pk_add_f32 v[20:21], v[76:77], v[20:21]
	v_pk_add_f32 v[52:53], v[118:119], v[52:53]
	;; [unrolled: 1-line block ×3, first 2 shown]
	v_mov_b32_e32 v99, v57
	ds_write_b64 v148, v[20:21] offset:1040
	s_movk_i32 s19, 0x50
	v_mov_b64_e32 v[20:21], s[10:11]
	v_pk_add_f32 v[52:53], v[122:123], v[52:53]
	v_pk_add_f32 v[54:55], v[98:99], v[54:55]
	v_mad_u64_u32 v[20:21], s[10:11], v67, s19, v[20:21]
	ds_write2_b64 v148, v[52:53], v[54:55] offset0:104 offset1:117
	s_waitcnt lgkmcnt(0)
	s_barrier
	global_load_dwordx4 v[28:31], v[20:21], off offset:1088
	global_load_dwordx4 v[40:43], v[20:21], off offset:1056
	;; [unrolled: 1-line block ×5, first 2 shown]
	ds_read2_b64 v[44:47], v74 offset0:56 offset1:199
	ds_read2_b64 v[52:55], v72 offset0:60 offset1:203
	;; [unrolled: 1-line block ×3, first 2 shown]
	s_mov_b32 s40, s31
	s_mov_b32 s10, s1
	;; [unrolled: 1-line block ×3, first 2 shown]
	s_waitcnt vmcnt(4)
	v_mov_b32_e32 v20, v31
	s_waitcnt lgkmcnt(2)
	v_pk_mul_f32 v[20:21], v[44:45], v[20:21] op_sel:[1,0] op_sel_hi:[0,1]
	v_pk_fma_f32 v[20:21], v[44:45], v[30:31], v[20:21] neg_lo:[0,0,1] neg_hi:[0,0,1]
	v_pk_mul_f32 v[48:49], v[44:45], v[30:31] op_sel:[1,0] op_sel_hi:[0,1]
	v_mov_b32_e32 v21, v48
	v_pk_fma_f32 v[44:45], v[44:45], v[30:31], v[20:21] op_sel:[1,0,0] op_sel_hi:[0,1,1]
	s_waitcnt vmcnt(3)
	v_mov_b32_e32 v44, v43
	s_waitcnt lgkmcnt(1)
	v_pk_mul_f32 v[60:61], v[52:53], v[44:45] op_sel_hi:[1,0]
	s_waitcnt vmcnt(2)
	v_mov_b32_e32 v44, v39
	v_pk_fma_f32 v[62:63], v[52:53], v[42:43], v[60:61] op_sel:[0,0,1] op_sel_hi:[1,1,0] neg_lo:[0,0,1] neg_hi:[0,0,1]
	v_pk_fma_f32 v[52:53], v[52:53], v[42:43], v[60:61] op_sel:[0,0,1] op_sel_hi:[1,0,0]
	ds_read2_b64 v[48:51], v64 offset1:143
	v_mov_b32_e32 v63, v53
	v_pk_mul_f32 v[52:53], v[54:55], v[36:37] op_sel:[0,1]
	v_mov_b32_e32 v21, v45
	v_pk_fma_f32 v[76:77], v[54:55], v[36:37], v[52:53] op_sel:[0,0,1] op_sel_hi:[1,1,0] neg_lo:[0,0,1] neg_hi:[0,0,1]
	v_pk_fma_f32 v[52:53], v[54:55], v[36:37], v[52:53] op_sel:[0,0,1] op_sel_hi:[1,0,0]
	s_nop 0
	v_mov_b32_e32 v77, v53
	s_waitcnt lgkmcnt(1)
	v_pk_mul_f32 v[52:53], v[56:57], v[44:45] op_sel_hi:[1,0]
	s_waitcnt vmcnt(1)
	v_mov_b32_e32 v44, v27
	v_pk_fma_f32 v[78:79], v[56:57], v[38:39], v[52:53] op_sel:[0,0,1] op_sel_hi:[1,1,0] neg_lo:[0,0,1] neg_hi:[0,0,1]
	v_pk_fma_f32 v[52:53], v[56:57], v[38:39], v[52:53] op_sel:[0,0,1] op_sel_hi:[1,0,0]
	s_nop 0
	v_mov_b32_e32 v79, v53
	v_pk_mul_f32 v[52:53], v[58:59], v[28:29] op_sel:[0,1]
	v_pk_add_f32 v[60:61], v[76:77], v[78:79]
	v_pk_fma_f32 v[56:57], v[58:59], v[28:29], v[52:53] op_sel:[0,0,1] op_sel_hi:[1,1,0] neg_lo:[0,0,1] neg_hi:[0,0,1]
	v_pk_fma_f32 v[52:53], v[58:59], v[28:29], v[52:53] op_sel:[0,0,1] op_sel_hi:[1,0,0]
	s_waitcnt lgkmcnt(0)
	v_pk_mul_f32 v[58:59], v[50:51], v[24:25] op_sel:[0,1]
	v_mov_b32_e32 v57, v53
	ds_read2_b64 v[52:55], v65 offset0:30 offset1:173
	v_pk_fma_f32 v[80:81], v[50:51], v[24:25], v[58:59] op_sel:[0,0,1] op_sel_hi:[1,1,0] neg_lo:[0,0,1] neg_hi:[0,0,1]
	v_pk_fma_f32 v[50:51], v[50:51], v[24:25], v[58:59] op_sel:[0,0,1] op_sel_hi:[1,0,0]
	v_pk_add_f32 v[58:59], v[76:77], v[78:79] neg_lo:[0,1] neg_hi:[0,1]
	v_mov_b32_e32 v81, v51
	s_waitcnt lgkmcnt(0)
	v_pk_mul_f32 v[50:51], v[52:53], v[44:45] op_sel_hi:[1,0]
	ds_read_b64 v[44:45], v64 offset:11440
	v_pk_fma_f32 v[82:83], v[52:53], v[26:27], v[50:51] op_sel:[0,0,1] op_sel_hi:[1,1,0] neg_lo:[0,0,1] neg_hi:[0,0,1]
	v_pk_fma_f32 v[50:51], v[52:53], v[26:27], v[50:51] op_sel:[0,0,1] op_sel_hi:[1,0,0]
	v_pk_add_f32 v[70:71], v[62:63], v[56:57]
	v_mov_b32_e32 v83, v51
	v_pk_mul_f32 v[50:51], v[54:55], v[40:41] op_sel:[0,1]
	s_nop 0
	v_pk_fma_f32 v[52:53], v[54:55], v[40:41], v[50:51] op_sel:[0,0,1] op_sel_hi:[1,1,0] neg_lo:[0,0,1] neg_hi:[0,0,1]
	v_pk_fma_f32 v[50:51], v[54:55], v[40:41], v[50:51] op_sel:[0,0,1] op_sel_hi:[1,0,0]
	s_nop 0
	v_mov_b32_e32 v53, v51
	v_pk_add_f32 v[50:51], v[48:49], v[80:81]
	s_nop 0
	v_pk_add_f32 v[50:51], v[50:51], v[82:83]
	s_nop 0
	v_pk_add_f32 v[50:51], v[50:51], v[52:53]
	s_nop 0
	v_pk_add_f32 v[50:51], v[50:51], v[62:63]
	v_pk_add_f32 v[62:63], v[62:63], v[56:57] neg_lo:[0,1] neg_hi:[0,1]
	v_pk_add_f32 v[50:51], v[50:51], v[76:77]
	s_waitcnt vmcnt(0)
	v_pk_mul_f32 v[76:77], v[46:47], v[32:33] op_sel:[0,1]
	v_pk_add_f32 v[54:55], v[50:51], v[78:79]
	v_pk_fma_f32 v[78:79], v[46:47], v[32:33], v[76:77] op_sel:[0,0,1] op_sel_hi:[1,1,0] neg_lo:[0,0,1] neg_hi:[0,0,1]
	v_pk_fma_f32 v[46:47], v[46:47], v[32:33], v[76:77] op_sel:[0,0,1] op_sel_hi:[1,0,0]
	v_pk_add_f32 v[50:51], v[52:53], v[20:21]
	v_mov_b32_e32 v46, v35
	v_mov_b32_e32 v79, v47
	s_waitcnt lgkmcnt(0)
	v_pk_mul_f32 v[46:47], v[44:45], v[46:47] op_sel_hi:[1,0]
	v_pk_add_f32 v[52:53], v[52:53], v[20:21] neg_lo:[0,1] neg_hi:[0,1]
	v_pk_fma_f32 v[76:77], v[44:45], v[34:35], v[46:47] op_sel:[0,0,1] op_sel_hi:[1,1,0] neg_lo:[0,0,1] neg_hi:[0,0,1]
	v_pk_fma_f32 v[44:45], v[44:45], v[34:35], v[46:47] op_sel:[0,0,1] op_sel_hi:[1,0,0]
	v_pk_mul_f32 v[98:99], v[62:63], s[28:29] op_sel:[1,0] op_sel_hi:[0,0]
	v_mov_b32_e32 v77, v45
	v_pk_add_f32 v[46:47], v[80:81], v[76:77] neg_lo:[0,1] neg_hi:[0,1]
	v_pk_add_f32 v[44:45], v[54:55], v[56:57]
	v_pk_add_f32 v[84:85], v[80:81], v[76:77]
	;; [unrolled: 1-line block ×3, first 2 shown]
	v_pk_mul_f32 v[44:45], v[46:47], s[14:15] op_sel:[1,0] op_sel_hi:[0,0]
	v_pk_fma_f32 v[80:81], v[84:85], s[42:43], v[44:45] op_sel_hi:[1,0,1]
	v_pk_fma_f32 v[44:45], v[84:85], s[42:43], v[44:45] op_sel_hi:[1,0,1] neg_lo:[0,0,1] neg_hi:[0,0,1]
	v_mov_b32_e32 v54, v80
	v_mov_b32_e32 v55, v45
	v_pk_add_f32 v[56:57], v[82:83], v[78:79] neg_lo:[0,1] neg_hi:[0,1]
	v_pk_add_f32 v[20:21], v[20:21], v[78:79]
	v_pk_add_f32 v[86:87], v[48:49], v[54:55]
	;; [unrolled: 1-line block ×3, first 2 shown]
	v_pk_mul_f32 v[78:79], v[56:57], s[30:31] op_sel:[1,0] op_sel_hi:[0,0]
	v_pk_fma_f32 v[82:83], v[54:55], s[40:41], v[78:79] op_sel_hi:[1,0,1]
	v_pk_fma_f32 v[78:79], v[54:55], s[40:41], v[78:79] op_sel_hi:[1,0,1] neg_lo:[0,0,1] neg_hi:[0,0,1]
	v_mov_b32_e32 v88, v82
	v_mov_b32_e32 v89, v79
	v_pk_add_f32 v[86:87], v[88:89], v[86:87]
	v_pk_mul_f32 v[88:89], v[52:53], s[0:1] op_sel:[1,0] op_sel_hi:[0,0]
	v_pk_fma_f32 v[90:91], v[50:51], s[10:11], v[88:89] op_sel_hi:[1,0,1]
	v_pk_fma_f32 v[88:89], v[50:51], s[10:11], v[88:89] op_sel_hi:[1,0,1] neg_lo:[0,0,1] neg_hi:[0,0,1]
	v_mov_b32_e32 v45, v81
	v_mov_b32_e32 v92, v90
	;; [unrolled: 1-line block ×4, first 2 shown]
	v_pk_mul_f32 v[90:91], v[62:63], s[16:17] op_sel:[1,0] op_sel_hi:[0,0]
	v_mov_b32_e32 v79, v83
	v_pk_add_f32 v[44:45], v[48:49], v[44:45]
	v_pk_add_f32 v[86:87], v[92:93], v[86:87]
	v_pk_fma_f32 v[92:93], v[70:71], s[44:45], v[90:91] op_sel_hi:[1,0,1]
	v_pk_fma_f32 v[90:91], v[70:71], s[44:45], v[90:91] op_sel_hi:[1,0,1] neg_lo:[0,0,1] neg_hi:[0,0,1]
	v_pk_add_f32 v[44:45], v[78:79], v[44:45]
	v_mov_b32_e32 v95, v91
	v_mov_b32_e32 v91, v93
	v_pk_mul_f32 v[78:79], v[60:61], s[46:47] op_sel_hi:[1,0]
	v_pk_add_f32 v[44:45], v[88:89], v[44:45]
	v_pk_fma_f32 v[80:81], v[58:59], s[28:29], v[78:79] op_sel:[1,0,0] op_sel_hi:[0,0,1] neg_lo:[1,0,0] neg_hi:[1,0,0]
	v_pk_fma_f32 v[78:79], v[58:59], s[28:29], v[78:79] op_sel:[1,0,0] op_sel_hi:[0,0,1]
	v_pk_add_f32 v[82:83], v[90:91], v[44:45]
	v_pk_add_f32 v[44:45], v[20:21], v[76:77]
	v_mov_b32_e32 v77, v85
	v_mov_b32_e32 v85, v46
	;; [unrolled: 1-line block ×7, first 2 shown]
	v_pk_mul_f32 v[20:21], v[84:85], s[34:35]
	v_mov_b32_e32 v94, v92
	v_pk_add_f32 v[46:47], v[80:81], v[82:83]
	v_pk_fma_f32 v[80:81], v[78:79], s[30:31], v[20:21] neg_lo:[1,0,0] neg_hi:[1,0,0]
	v_pk_fma_f32 v[82:83], v[76:77], s[30:31], v[20:21]
	v_pk_fma_f32 v[20:21], v[76:77], s[30:31], v[20:21] neg_lo:[0,0,1] neg_hi:[0,0,1]
	v_mov_b32_e32 v81, v83
	v_mov_b32_e32 v83, v21
	v_pk_add_f32 v[20:21], v[94:95], v[86:87]
	v_pk_mul_f32 v[86:87], v[84:85], s[38:39]
	v_pk_add_f32 v[20:21], v[88:89], v[20:21]
	v_pk_fma_f32 v[88:89], v[78:79], s[28:29], v[86:87] neg_lo:[1,0,0] neg_hi:[1,0,0]
	v_pk_fma_f32 v[90:91], v[76:77], s[28:29], v[86:87]
	v_pk_fma_f32 v[86:87], v[76:77], s[28:29], v[86:87] neg_lo:[0,0,1] neg_hi:[0,0,1]
	v_mov_b32_e32 v89, v91
	v_mov_b32_e32 v91, v87
	v_pk_mul_f32 v[86:87], v[84:85], s[36:37]
	v_pk_mul_f32 v[84:85], v[84:85], s[26:27]
	v_pk_fma_f32 v[92:93], v[78:79], s[16:17], v[86:87] neg_lo:[1,0,0] neg_hi:[1,0,0]
	v_pk_fma_f32 v[94:95], v[76:77], s[16:17], v[86:87]
	v_pk_fma_f32 v[86:87], v[76:77], s[16:17], v[86:87] neg_lo:[0,0,1] neg_hi:[0,0,1]
	v_mov_b32_e32 v93, v95
	v_mov_b32_e32 v95, v87
	v_pk_fma_f32 v[78:79], v[78:79], s[0:1], v[84:85] neg_lo:[1,0,0] neg_hi:[1,0,0]
	v_pk_fma_f32 v[86:87], v[76:77], s[0:1], v[84:85]
	v_pk_fma_f32 v[76:77], v[76:77], s[0:1], v[84:85] neg_lo:[0,0,1] neg_hi:[0,0,1]
	v_mov_b32_e32 v79, v87
	v_mov_b32_e32 v87, v77
	v_pk_add_f32 v[84:85], v[48:49], v[90:91]
	v_pk_add_f32 v[90:91], v[48:49], v[94:95]
	v_pk_mul_f32 v[94:95], v[62:63], s[14:15] op_sel:[1,0] op_sel_hi:[0,0]
	v_pk_add_f32 v[76:77], v[48:49], v[80:81]
	v_pk_add_f32 v[80:81], v[48:49], v[82:83]
	;; [unrolled: 1-line block ×6, first 2 shown]
	v_pk_mul_f32 v[48:49], v[70:71], s[10:11] op_sel_hi:[1,0]
	v_pk_fma_f32 v[96:97], v[70:71], s[42:43], v[94:95] op_sel_hi:[1,0,1]
	v_pk_fma_f32 v[94:95], v[70:71], s[42:43], v[94:95] op_sel_hi:[1,0,1] neg_lo:[0,0,1] neg_hi:[0,0,1]
	v_pk_fma_f32 v[100:101], v[70:71], s[46:47], v[98:99] op_sel_hi:[1,0,1]
	v_pk_fma_f32 v[98:99], v[70:71], s[46:47], v[98:99] op_sel_hi:[1,0,1] neg_lo:[0,0,1] neg_hi:[0,0,1]
	v_pk_mul_f32 v[70:71], v[70:71], s[40:41] op_sel_hi:[1,0]
	v_pk_fma_f32 v[92:93], v[62:63], s[24:25], v[48:49] op_sel:[1,0,0] op_sel_hi:[0,0,1] neg_lo:[1,0,0] neg_hi:[1,0,0]
	v_pk_fma_f32 v[48:49], v[62:63], s[24:25], v[48:49] op_sel:[1,0,0] op_sel_hi:[0,0,1]
	v_pk_fma_f32 v[102:103], v[62:63], s[20:21], v[70:71] op_sel:[1,0,0] op_sel_hi:[0,0,1] neg_lo:[1,0,0] neg_hi:[1,0,0]
	v_pk_fma_f32 v[62:63], v[62:63], s[20:21], v[70:71] op_sel:[1,0,0] op_sel_hi:[0,0,1]
	v_mov_b32_e32 v70, v102
	v_mov_b32_e32 v71, v63
	v_mov_b32_e32 v63, v103
	v_pk_mul_f32 v[102:103], v[52:53], s[18:19] op_sel:[1,0] op_sel_hi:[0,0]
	v_pk_fma_f32 v[104:105], v[50:51], s[46:47], v[102:103] op_sel_hi:[1,0,1]
	v_pk_fma_f32 v[102:103], v[50:51], s[46:47], v[102:103] op_sel_hi:[1,0,1] neg_lo:[0,0,1] neg_hi:[0,0,1]
	v_mov_b32_e32 v108, v104
	v_mov_b32_e32 v109, v103
	;; [unrolled: 1-line block ×3, first 2 shown]
	v_pk_mul_f32 v[104:105], v[56:57], s[16:17] op_sel:[1,0] op_sel_hi:[0,0]
	v_pk_fma_f32 v[110:111], v[54:55], s[44:45], v[104:105] op_sel_hi:[1,0,1]
	v_pk_fma_f32 v[104:105], v[54:55], s[44:45], v[104:105] op_sel_hi:[1,0,1] neg_lo:[0,0,1] neg_hi:[0,0,1]
	v_mov_b32_e32 v112, v110
	v_mov_b32_e32 v113, v105
	;; [unrolled: 1-line block ×3, first 2 shown]
	v_pk_add_f32 v[76:77], v[104:105], v[76:77]
	v_pk_add_f32 v[80:81], v[112:113], v[80:81]
	;; [unrolled: 1-line block ×3, first 2 shown]
	v_pk_mul_f32 v[102:103], v[52:53], s[16:17] op_sel:[1,0] op_sel_hi:[0,0]
	v_pk_fma_f32 v[104:105], v[50:51], s[44:45], v[102:103] op_sel_hi:[1,0,1] neg_lo:[0,0,1] neg_hi:[0,0,1]
	v_pk_fma_f32 v[102:103], v[50:51], s[44:45], v[102:103] op_sel_hi:[1,0,1]
	v_pk_add_f32 v[80:81], v[108:109], v[80:81]
	v_mov_b32_e32 v108, v104
	v_mov_b32_e32 v109, v103
	v_mov_b32_e32 v103, v105
	v_pk_mul_f32 v[104:105], v[56:57], s[22:23] op_sel:[1,0] op_sel_hi:[0,0]
	v_pk_fma_f32 v[110:111], v[54:55], s[42:43], v[104:105] op_sel_hi:[1,0,1] neg_lo:[0,0,1] neg_hi:[0,0,1]
	v_pk_fma_f32 v[104:105], v[54:55], s[42:43], v[104:105] op_sel_hi:[1,0,1]
	v_mov_b32_e32 v112, v110
	v_mov_b32_e32 v113, v105
	;; [unrolled: 1-line block ×3, first 2 shown]
	v_pk_add_f32 v[84:85], v[104:105], v[84:85]
	v_pk_add_f32 v[82:83], v[112:113], v[82:83]
	;; [unrolled: 1-line block ×3, first 2 shown]
	v_mov_b32_e32 v102, v48
	v_mov_b32_e32 v103, v93
	;; [unrolled: 1-line block ×3, first 2 shown]
	v_pk_add_f32 v[48:49], v[92:93], v[76:77]
	v_pk_add_f32 v[76:77], v[102:103], v[80:81]
	v_pk_mul_f32 v[80:81], v[52:53], s[20:21] op_sel:[1,0] op_sel_hi:[0,0]
	v_pk_mul_f32 v[52:53], v[52:53], s[14:15] op_sel:[1,0] op_sel_hi:[0,0]
	v_pk_fma_f32 v[92:93], v[50:51], s[40:41], v[80:81] op_sel_hi:[1,0,1]
	v_pk_fma_f32 v[80:81], v[50:51], s[40:41], v[80:81] op_sel_hi:[1,0,1] neg_lo:[0,0,1] neg_hi:[0,0,1]
	v_pk_fma_f32 v[102:103], v[50:51], s[42:43], v[52:53] op_sel_hi:[1,0,1] neg_lo:[0,0,1] neg_hi:[0,0,1]
	v_pk_fma_f32 v[50:51], v[50:51], s[42:43], v[52:53] op_sel_hi:[1,0,1]
	v_mov_b32_e32 v52, v102
	v_mov_b32_e32 v53, v51
	;; [unrolled: 1-line block ×6, first 2 shown]
	v_pk_mul_f32 v[100:101], v[56:57], s[24:25] op_sel:[1,0] op_sel_hi:[0,0]
	v_pk_fma_f32 v[104:105], v[54:55], s[10:11], v[100:101] op_sel_hi:[1,0,1] neg_lo:[0,0,1] neg_hi:[0,0,1]
	v_pk_fma_f32 v[100:101], v[54:55], s[10:11], v[100:101] op_sel_hi:[1,0,1]
	v_pk_add_f32 v[82:83], v[108:109], v[82:83]
	v_mov_b32_e32 v109, v101
	v_mov_b32_e32 v101, v105
	;; [unrolled: 1-line block ×3, first 2 shown]
	v_pk_add_f32 v[90:91], v[100:101], v[90:91]
	v_pk_add_f32 v[88:89], v[108:109], v[88:89]
	;; [unrolled: 1-line block ×5, first 2 shown]
	v_pk_mul_f32 v[50:51], v[60:61], s[42:43] op_sel_hi:[1,0]
	v_pk_add_f32 v[88:89], v[98:99], v[52:53]
	v_pk_fma_f32 v[52:53], v[58:59], s[22:23], v[50:51] op_sel:[1,0,0] op_sel_hi:[0,0,1] neg_lo:[1,0,0] neg_hi:[1,0,0]
	v_pk_fma_f32 v[50:51], v[58:59], s[22:23], v[50:51] op_sel:[1,0,0] op_sel_hi:[0,0,1]
	v_pk_mul_f32 v[56:57], v[56:57], s[18:19] op_sel:[1,0] op_sel_hi:[0,0]
	v_pk_add_f32 v[70:71], v[70:71], v[82:83]
	v_pk_add_f32 v[82:83], v[62:63], v[84:85]
	v_mov_b32_e32 v62, v52
	v_mov_b32_e32 v63, v51
	;; [unrolled: 1-line block ×6, first 2 shown]
	v_pk_fma_f32 v[92:93], v[54:55], s[46:47], v[56:57] op_sel_hi:[1,0,1] neg_lo:[0,0,1] neg_hi:[0,0,1]
	v_pk_fma_f32 v[56:57], v[54:55], s[46:47], v[56:57] op_sel_hi:[1,0,1]
	v_mov_b32_e32 v54, v92
	v_mov_b32_e32 v55, v57
	v_pk_add_f32 v[78:79], v[54:55], v[78:79]
	v_mov_b32_e32 v57, v93
	v_mov_b32_e32 v85, v95
	;; [unrolled: 1-line block ×3, first 2 shown]
	v_pk_add_f32 v[48:49], v[62:63], v[48:49]
	v_pk_add_f32 v[54:55], v[50:51], v[76:77]
	v_pk_mul_f32 v[50:51], v[58:59], s[16:17] op_sel:[1,0] op_sel_hi:[0,0]
	v_pk_add_f32 v[56:57], v[56:57], v[86:87]
	v_pk_add_f32 v[62:63], v[80:81], v[78:79]
	;; [unrolled: 1-line block ×4, first 2 shown]
	v_pk_fma_f32 v[62:63], v[60:61], s[44:45], v[50:51] op_sel_hi:[1,0,1] neg_lo:[0,0,1] neg_hi:[0,0,1]
	v_pk_fma_f32 v[76:77], v[60:61], s[44:45], v[50:51] op_sel_hi:[1,0,1]
	v_mov_b32_e32 v84, v96
	v_mov_b32_e32 v50, v62
	v_mov_b32_e32 v51, v77
	v_pk_add_f32 v[52:53], v[84:85], v[52:53]
	v_pk_add_f32 v[50:51], v[50:51], v[56:57]
	v_mov_b32_e32 v77, v63
	v_pk_mul_f32 v[56:57], v[60:61], s[40:41] op_sel_hi:[1,0]
	v_pk_add_f32 v[52:53], v[76:77], v[52:53]
	v_pk_fma_f32 v[62:63], v[58:59], s[20:21], v[56:57] op_sel:[1,0,0] op_sel_hi:[0,0,1] neg_lo:[1,0,0] neg_hi:[1,0,0]
	v_pk_fma_f32 v[76:77], v[58:59], s[20:21], v[56:57] op_sel:[1,0,0] op_sel_hi:[0,0,1]
	v_mov_b32_e32 v57, v77
	v_mov_b32_e32 v77, v63
	v_pk_mul_f32 v[60:61], v[60:61], s[10:11] op_sel_hi:[1,0]
	v_mov_b32_e32 v56, v62
	v_pk_add_f32 v[62:63], v[76:77], v[90:91]
	v_pk_fma_f32 v[76:77], v[58:59], s[0:1], v[60:61] op_sel:[1,0,0] op_sel_hi:[0,0,1] neg_lo:[1,0,0] neg_hi:[1,0,0]
	v_pk_fma_f32 v[60:61], v[58:59], s[0:1], v[60:61] op_sel:[1,0,0] op_sel_hi:[0,0,1]
	v_mov_b32_e32 v58, v76
	v_mov_b32_e32 v59, v61
	;; [unrolled: 1-line block ×3, first 2 shown]
	v_pk_add_f32 v[56:57], v[56:57], v[88:89]
	v_pk_add_f32 v[58:59], v[58:59], v[70:71]
	v_pk_add_f32 v[60:61], v[60:61], v[82:83]
	ds_write2_b64 v64, v[44:45], v[46:47] offset1:143
	ds_write2_b64 v65, v[48:49], v[50:51] offset0:30 offset1:173
	ds_write2_b64 v72, v[56:57], v[58:59] offset0:60 offset1:203
	;; [unrolled: 1-line block ×4, first 2 shown]
	ds_write_b64 v64, v[20:21] offset:11440
	s_waitcnt lgkmcnt(0)
	s_barrier
	s_and_saveexec_b64 s[0:1], s[2:3]
	s_cbranch_execz .LBB0_9
; %bb.8:
	v_mov_b32_e32 v65, 0
	v_lshl_add_u64 v[74:75], s[8:9], 0, v[64:65]
	v_add_co_u32_e32 v78, vcc, 0x3000, v74
	ds_read2_b64 v[70:73], v64 offset1:121
	s_nop 0
	v_addc_co_u32_e32 v79, vcc, 0, v75, vcc
	global_load_dwordx2 v[78:79], v[78:79], off offset:296
	s_mov_b64 s[10:11], 0x3128
	v_lshl_add_u64 v[76:77], v[74:75], 0, s[10:11]
	s_movk_i32 s10, 0x4000
	s_waitcnt vmcnt(0) lgkmcnt(0)
	v_mul_f32_e32 v65, v71, v79
	v_mul_f32_e32 v81, v70, v79
	v_fma_f32 v80, v70, v78, -v65
	v_fmac_f32_e32 v81, v71, v78
	global_load_dwordx2 v[70:71], v[76:77], off offset:968
	s_waitcnt vmcnt(0)
	v_mul_f32_e32 v65, v73, v71
	v_mul_f32_e32 v79, v72, v71
	v_fma_f32 v78, v72, v70, -v65
	v_fmac_f32_e32 v79, v73, v70
	ds_write2_b64 v64, v[80:81], v[78:79] offset1:121
	global_load_dwordx2 v[78:79], v[76:77], off offset:1936
	v_add_u32_e32 v65, 0x400, v64
	ds_read2_b64 v[70:73], v65 offset0:114 offset1:235
	s_waitcnt vmcnt(0) lgkmcnt(0)
	v_mul_f32_e32 v80, v71, v79
	v_mul_f32_e32 v81, v70, v79
	v_fma_f32 v80, v70, v78, -v80
	v_fmac_f32_e32 v81, v71, v78
	global_load_dwordx2 v[70:71], v[76:77], off offset:2904
	s_waitcnt vmcnt(0)
	v_mul_f32_e32 v78, v73, v71
	global_load_dwordx2 v[76:77], v[76:77], off offset:3872
	v_mul_f32_e32 v79, v72, v71
	v_fma_f32 v78, v72, v70, -v78
	v_fmac_f32_e32 v79, v73, v70
	ds_write2_b64 v65, v[80:81], v[78:79] offset0:114 offset1:235
	v_add_u32_e32 v65, 0xc00, v64
	ds_read2_b64 v[70:73], v65 offset0:100 offset1:221
	s_waitcnt vmcnt(0) lgkmcnt(0)
	v_mul_f32_e32 v78, v71, v77
	v_mul_f32_e32 v79, v70, v77
	v_fma_f32 v78, v70, v76, -v78
	v_fmac_f32_e32 v79, v71, v76
	v_add_co_u32_e32 v76, vcc, s10, v74
	s_movk_i32 s10, 0x5000
	s_nop 0
	v_addc_co_u32_e32 v77, vcc, 0, v75, vcc
	global_load_dwordx2 v[70:71], v[76:77], off offset:1040
	v_add_co_u32_e32 v74, vcc, s10, v74
	s_waitcnt vmcnt(0)
	v_mul_f32_e32 v80, v73, v71
	v_mul_f32_e32 v81, v72, v71
	v_fma_f32 v80, v72, v70, -v80
	v_fmac_f32_e32 v81, v73, v70
	ds_write2_b64 v65, v[78:79], v[80:81] offset0:100 offset1:221
	global_load_dwordx2 v[78:79], v[76:77], off offset:2008
	v_add_u32_e32 v65, 0x1400, v64
	ds_read2_b64 v[70:73], v65 offset0:86 offset1:207
	v_addc_co_u32_e32 v75, vcc, 0, v75, vcc
	s_waitcnt vmcnt(0) lgkmcnt(0)
	v_mul_f32_e32 v80, v71, v79
	v_mul_f32_e32 v81, v70, v79
	v_fma_f32 v80, v70, v78, -v80
	v_fmac_f32_e32 v81, v71, v78
	global_load_dwordx2 v[70:71], v[76:77], off offset:2976
	s_waitcnt vmcnt(0)
	v_mul_f32_e32 v78, v73, v71
	global_load_dwordx2 v[76:77], v[76:77], off offset:3944
	v_mul_f32_e32 v79, v72, v71
	v_fma_f32 v78, v72, v70, -v78
	v_fmac_f32_e32 v79, v73, v70
	ds_write2_b64 v65, v[80:81], v[78:79] offset0:86 offset1:207
	v_add_u32_e32 v65, 0x1c00, v64
	ds_read2_b64 v[70:73], v65 offset0:72 offset1:193
	s_waitcnt vmcnt(0) lgkmcnt(0)
	v_mul_f32_e32 v78, v71, v77
	v_mul_f32_e32 v79, v70, v77
	v_fma_f32 v78, v70, v76, -v78
	v_fmac_f32_e32 v79, v71, v76
	global_load_dwordx2 v[70:71], v[74:75], off offset:816
	s_waitcnt vmcnt(0)
	v_mul_f32_e32 v76, v73, v71
	v_mul_f32_e32 v77, v72, v71
	v_fma_f32 v76, v72, v70, -v76
	v_fmac_f32_e32 v77, v73, v70
	ds_write2_b64 v65, v[78:79], v[76:77] offset0:72 offset1:193
	global_load_dwordx2 v[76:77], v[74:75], off offset:1784
	v_add_u32_e32 v65, 0x2400, v64
	ds_read2_b64 v[70:73], v65 offset0:58 offset1:179
	s_waitcnt vmcnt(0) lgkmcnt(0)
	v_mul_f32_e32 v78, v71, v77
	v_mul_f32_e32 v79, v70, v77
	v_fma_f32 v78, v70, v76, -v78
	v_fmac_f32_e32 v79, v71, v76
	global_load_dwordx2 v[70:71], v[74:75], off offset:2752
	s_waitcnt vmcnt(0)
	v_mul_f32_e32 v76, v73, v71
	v_mul_f32_e32 v77, v72, v71
	v_fma_f32 v76, v72, v70, -v76
	v_fmac_f32_e32 v77, v73, v70
	global_load_dwordx2 v[72:73], v[74:75], off offset:3720
	ds_read_b64 v[70:71], v64 offset:11616
	ds_write2_b64 v65, v[78:79], v[76:77] offset0:58 offset1:179
	s_waitcnt vmcnt(0) lgkmcnt(1)
	v_mul_f32_e32 v65, v71, v73
	v_mul_f32_e32 v75, v70, v73
	v_fma_f32 v74, v70, v72, -v65
	v_fmac_f32_e32 v75, v71, v72
	ds_write_b64 v64, v[74:75] offset:11616
.LBB0_9:
	s_or_b64 exec, exec, s[0:1]
	s_waitcnt lgkmcnt(0)
	s_barrier
	s_and_saveexec_b64 s[0:1], s[2:3]
	s_cbranch_execz .LBB0_11
; %bb.10:
	v_add_u32_e32 v20, 0x400, v64
	ds_read2_b64 v[48:51], v20 offset0:114 offset1:235
	v_add_u32_e32 v20, 0xc00, v64
	ds_read2_b64 v[56:59], v20 offset0:100 offset1:221
	;; [unrolled: 2-line block ×4, first 2 shown]
	v_add_u32_e32 v20, 0x2400, v64
	ds_read2_b64 v[44:47], v64 offset1:121
	ds_read2_b64 v[20:23], v20 offset0:58 offset1:179
	ds_read_b64 v[68:69], v64 offset:11616
.LBB0_11:
	s_or_b64 exec, exec, s[0:1]
	v_mov_b32_e32 v104, v2
	v_mov_b32_e32 v105, v2
	;; [unrolled: 1-line block ×54, first 2 shown]
	s_waitcnt lgkmcnt(0)
	s_barrier
	s_and_saveexec_b64 s[0:1], s[2:3]
	s_cbranch_execz .LBB0_13
; %bb.12:
	v_pk_add_f32 v[108:109], v[46:47], v[44:45]
	v_lshlrev_b32_e32 v65, 3, v106
	v_pk_add_f32 v[106:107], v[48:49], v[108:109]
	v_pk_add_f32 v[152:153], v[46:47], v[68:69] neg_lo:[0,1] neg_hi:[0,1]
	v_pk_add_f32 v[106:107], v[50:51], v[106:107]
	s_mov_b32 s10, 0xbeedf032
	v_pk_add_f32 v[106:107], v[56:57], v[106:107]
	v_pk_add_f32 v[150:151], v[68:69], v[46:47]
	;; [unrolled: 1-line block ×5, first 2 shown]
	v_pk_add_f32 v[154:155], v[48:49], v[22:23] neg_lo:[0,1] neg_hi:[0,1]
	v_pk_add_f32 v[106:107], v[62:63], v[106:107]
	s_mov_b32 s16, 0x3f62ad3f
	v_pk_add_f32 v[106:107], v[52:53], v[106:107]
	v_pk_add_f32 v[142:143], v[20:21], v[50:51]
	v_pk_add_f32 v[106:107], v[54:55], v[106:107]
	v_pk_add_f32 v[144:145], v[50:51], v[20:21] neg_lo:[0,1] neg_hi:[0,1]
	v_pk_add_f32 v[106:107], v[20:21], v[106:107]
	s_mov_b32 s26, 0xbf52af12
	v_pk_add_f32 v[106:107], v[22:23], v[106:107]
	v_pk_mul_f32 v[22:23], v[152:153], s[10:11] op_sel_hi:[1,0]
	s_mov_b32 s14, 0x3f116cb1
	v_pk_fma_f32 v[20:21], v[150:151], s[16:17], v[22:23] op_sel:[0,0,1] op_sel_hi:[1,0,0]
	v_pk_fma_f32 v[22:23], v[150:151], s[16:17], v[22:23] op_sel:[0,0,1] op_sel_hi:[1,0,0] neg_lo:[0,0,1] neg_hi:[0,0,1]
	v_mov_b32_e32 v46, v20
	v_mov_b32_e32 v47, v23
	v_pk_mul_f32 v[48:49], v[154:155], s[26:27] op_sel_hi:[1,0]
	v_pk_add_f32 v[50:51], v[44:45], v[46:47]
	v_pk_fma_f32 v[46:47], v[146:147], s[14:15], v[48:49] op_sel:[0,0,1] op_sel_hi:[1,0,0]
	v_pk_fma_f32 v[48:49], v[146:147], s[14:15], v[48:49] op_sel:[0,0,1] op_sel_hi:[1,0,0] neg_lo:[0,0,1] neg_hi:[0,0,1]
	v_pk_add_f32 v[134:135], v[52:53], v[58:59]
	v_pk_add_f32 v[136:137], v[58:59], v[52:53] neg_lo:[0,1] neg_hi:[0,1]
	v_mov_b32_e32 v52, v46
	v_mov_b32_e32 v53, v49
	s_mov_b32 s36, 0xbf7e222b
	v_pk_add_f32 v[138:139], v[54:55], v[56:57]
	v_pk_add_f32 v[140:141], v[56:57], v[54:55] neg_lo:[0,1] neg_hi:[0,1]
	v_pk_add_f32 v[54:55], v[52:53], v[50:51]
	s_mov_b32 s10, 0x3df6dbef
	v_pk_mul_f32 v[52:53], v[144:145], s[36:37] op_sel_hi:[1,0]
	s_mov_b32 s20, 0xbf6f5d39
	v_pk_fma_f32 v[50:51], v[142:143], s[10:11], v[52:53] op_sel:[0,0,1] op_sel_hi:[1,0,0]
	v_pk_fma_f32 v[52:53], v[142:143], s[10:11], v[52:53] op_sel:[0,0,1] op_sel_hi:[1,0,0] neg_lo:[0,0,1] neg_hi:[0,0,1]
	v_mov_b32_e32 v56, v50
	v_mov_b32_e32 v57, v53
	v_pk_add_f32 v[58:59], v[56:57], v[54:55]
	s_mov_b32 s18, 0xbeb58ec6
	v_pk_mul_f32 v[56:57], v[140:141], s[20:21] op_sel_hi:[1,0]
	v_pk_add_f32 v[130:131], v[62:63], v[60:61]
	v_pk_fma_f32 v[54:55], v[138:139], s[18:19], v[56:57] op_sel:[0,0,1] op_sel_hi:[1,0,0]
	v_pk_fma_f32 v[56:57], v[138:139], s[18:19], v[56:57] op_sel:[0,0,1] op_sel_hi:[1,0,0] neg_lo:[0,0,1] neg_hi:[0,0,1]
	v_pk_add_f32 v[132:133], v[60:61], v[62:63] neg_lo:[0,1] neg_hi:[0,1]
	v_mov_b32_e32 v60, v54
	v_mov_b32_e32 v61, v57
	s_mov_b32 s24, 0xbf29c268
	v_pk_add_f32 v[62:63], v[60:61], v[58:59]
	s_mov_b32 s22, 0xbf3f9e67
	v_pk_mul_f32 v[60:61], v[136:137], s[24:25] op_sel_hi:[1,0]
	v_pk_add_f32 v[106:107], v[68:69], v[106:107]
	v_pk_fma_f32 v[58:59], v[134:135], s[22:23], v[60:61] op_sel:[0,0,1] op_sel_hi:[1,0,0]
	v_pk_fma_f32 v[60:61], v[134:135], s[22:23], v[60:61] op_sel:[0,0,1] op_sel_hi:[1,0,0] neg_lo:[0,0,1] neg_hi:[0,0,1]
	v_mov_b32_e32 v68, v58
	v_mov_b32_e32 v69, v61
	s_mov_b32 s30, 0xbe750f2a
	v_pk_add_f32 v[108:109], v[68:69], v[62:63]
	s_mov_b32 s28, 0xbf788fa5
	v_pk_mul_f32 v[68:69], v[132:133], s[30:31] op_sel_hi:[1,0]
	v_pk_mul_f32 v[112:113], v[154:155], s[20:21] op_sel_hi:[1,0]
	v_pk_fma_f32 v[62:63], v[130:131], s[28:29], v[68:69] op_sel:[0,0,1] op_sel_hi:[1,0,0]
	v_pk_fma_f32 v[68:69], v[130:131], s[28:29], v[68:69] op_sel:[0,0,1] op_sel_hi:[1,0,0] neg_lo:[0,0,1] neg_hi:[0,0,1]
	v_mov_b32_e32 v110, v62
	v_mov_b32_e32 v111, v69
	v_pk_add_f32 v[108:109], v[110:111], v[108:109]
	ds_write2_b64 v65, v[106:107], v[108:109] offset1:1
	v_pk_mul_f32 v[108:109], v[152:153], s[26:27] op_sel_hi:[1,0]
	s_mov_b32 s40, 0x3f29c268
	v_pk_fma_f32 v[106:107], v[150:151], s[14:15], v[108:109] op_sel:[0,0,1] op_sel_hi:[1,0,0]
	v_pk_fma_f32 v[108:109], v[150:151], s[14:15], v[108:109] op_sel:[0,0,1] op_sel_hi:[1,0,0] neg_lo:[0,0,1] neg_hi:[0,0,1]
	v_mov_b32_e32 v110, v106
	v_mov_b32_e32 v111, v109
	v_pk_add_f32 v[114:115], v[44:45], v[110:111]
	v_pk_fma_f32 v[110:111], v[146:147], s[18:19], v[112:113] op_sel:[0,0,1] op_sel_hi:[1,0,0]
	v_pk_fma_f32 v[112:113], v[146:147], s[18:19], v[112:113] op_sel:[0,0,1] op_sel_hi:[1,0,0] neg_lo:[0,0,1] neg_hi:[0,0,1]
	v_mov_b32_e32 v116, v110
	v_mov_b32_e32 v117, v113
	v_pk_add_f32 v[118:119], v[116:117], v[114:115]
	v_pk_mul_f32 v[116:117], v[144:145], s[30:31] op_sel_hi:[1,0]
	s_mov_b32 s34, 0x3f7e222b
	v_pk_fma_f32 v[114:115], v[142:143], s[28:29], v[116:117] op_sel:[0,0,1] op_sel_hi:[1,0,0]
	v_pk_fma_f32 v[116:117], v[142:143], s[28:29], v[116:117] op_sel:[0,0,1] op_sel_hi:[1,0,0] neg_lo:[0,0,1] neg_hi:[0,0,1]
	v_mov_b32_e32 v120, v114
	v_mov_b32_e32 v121, v117
	v_pk_add_f32 v[122:123], v[120:121], v[118:119]
	v_pk_mul_f32 v[120:121], v[140:141], s[40:41] op_sel_hi:[1,0]
	s_mov_b32 s38, 0x3eedf032
	v_pk_fma_f32 v[118:119], v[138:139], s[22:23], v[120:121] op_sel:[0,0,1] op_sel_hi:[1,0,0]
	v_pk_fma_f32 v[120:121], v[138:139], s[22:23], v[120:121] op_sel:[0,0,1] op_sel_hi:[1,0,0] neg_lo:[0,0,1] neg_hi:[0,0,1]
	v_mov_b32_e32 v124, v118
	v_mov_b32_e32 v125, v121
	v_pk_add_f32 v[126:127], v[124:125], v[122:123]
	v_pk_mul_f32 v[124:125], v[136:137], s[34:35] op_sel_hi:[1,0]
	v_pk_mul_f32 v[164:165], v[154:155], s[30:31] op_sel_hi:[1,0]
	v_pk_fma_f32 v[122:123], v[134:135], s[10:11], v[124:125] op_sel:[0,0,1] op_sel_hi:[1,0,0]
	v_pk_fma_f32 v[124:125], v[134:135], s[10:11], v[124:125] op_sel:[0,0,1] op_sel_hi:[1,0,0] neg_lo:[0,0,1] neg_hi:[0,0,1]
	v_mov_b32_e32 v128, v122
	v_mov_b32_e32 v129, v125
	v_pk_add_f32 v[156:157], v[128:129], v[126:127]
	v_pk_mul_f32 v[128:129], v[132:133], s[38:39] op_sel_hi:[1,0]
	v_pk_fma_f32 v[166:167], v[146:147], s[28:29], v[164:165] op_sel:[0,0,1] op_sel_hi:[1,0,0]
	v_pk_fma_f32 v[126:127], v[130:131], s[16:17], v[128:129] op_sel:[0,0,1] op_sel_hi:[1,0,0]
	v_pk_fma_f32 v[128:129], v[130:131], s[16:17], v[128:129] op_sel:[0,0,1] op_sel_hi:[1,0,0] neg_lo:[0,0,1] neg_hi:[0,0,1]
	v_mov_b32_e32 v158, v126
	v_mov_b32_e32 v159, v129
	v_pk_add_f32 v[156:157], v[158:159], v[156:157]
	v_pk_mul_f32 v[158:159], v[152:153], s[36:37] op_sel_hi:[1,0]
	v_pk_fma_f32 v[164:165], v[146:147], s[28:29], v[164:165] op_sel:[0,0,1] op_sel_hi:[1,0,0] neg_lo:[0,0,1] neg_hi:[0,0,1]
	v_pk_fma_f32 v[160:161], v[150:151], s[10:11], v[158:159] op_sel:[0,0,1] op_sel_hi:[1,0,0]
	v_pk_fma_f32 v[158:159], v[150:151], s[10:11], v[158:159] op_sel:[0,0,1] op_sel_hi:[1,0,0] neg_lo:[0,0,1] neg_hi:[0,0,1]
	v_mov_b32_e32 v162, v160
	v_mov_b32_e32 v163, v159
	v_pk_add_f32 v[162:163], v[44:45], v[162:163]
	v_mov_b32_e32 v168, v166
	v_mov_b32_e32 v169, v165
	s_mov_b32 s42, 0x3f6f5d39
	v_pk_add_f32 v[162:163], v[168:169], v[162:163]
	v_pk_mul_f32 v[168:169], v[144:145], s[42:43] op_sel_hi:[1,0]
	v_pk_mul_f32 v[186:187], v[154:155], s[40:41] op_sel_hi:[1,0]
	v_pk_fma_f32 v[170:171], v[142:143], s[18:19], v[168:169] op_sel:[0,0,1] op_sel_hi:[1,0,0]
	v_pk_fma_f32 v[168:169], v[142:143], s[18:19], v[168:169] op_sel:[0,0,1] op_sel_hi:[1,0,0] neg_lo:[0,0,1] neg_hi:[0,0,1]
	v_mov_b32_e32 v172, v170
	v_mov_b32_e32 v173, v169
	v_pk_add_f32 v[162:163], v[172:173], v[162:163]
	v_pk_mul_f32 v[172:173], v[140:141], s[38:39] op_sel_hi:[1,0]
	v_pk_fma_f32 v[188:189], v[146:147], s[22:23], v[186:187] op_sel:[0,0,1] op_sel_hi:[1,0,0]
	v_pk_fma_f32 v[174:175], v[138:139], s[16:17], v[172:173] op_sel:[0,0,1] op_sel_hi:[1,0,0]
	v_pk_fma_f32 v[172:173], v[138:139], s[16:17], v[172:173] op_sel:[0,0,1] op_sel_hi:[1,0,0] neg_lo:[0,0,1] neg_hi:[0,0,1]
	v_mov_b32_e32 v176, v174
	v_mov_b32_e32 v177, v173
	v_pk_add_f32 v[162:163], v[176:177], v[162:163]
	v_pk_mul_f32 v[176:177], v[136:137], s[26:27] op_sel_hi:[1,0]
	v_pk_fma_f32 v[186:187], v[146:147], s[22:23], v[186:187] op_sel:[0,0,1] op_sel_hi:[1,0,0] neg_lo:[0,0,1] neg_hi:[0,0,1]
	v_pk_fma_f32 v[178:179], v[134:135], s[14:15], v[176:177] op_sel:[0,0,1] op_sel_hi:[1,0,0]
	v_pk_fma_f32 v[176:177], v[134:135], s[14:15], v[176:177] op_sel:[0,0,1] op_sel_hi:[1,0,0] neg_lo:[0,0,1] neg_hi:[0,0,1]
	v_mov_b32_e32 v180, v178
	v_mov_b32_e32 v181, v177
	v_pk_add_f32 v[162:163], v[180:181], v[162:163]
	v_pk_mul_f32 v[180:181], v[132:133], s[24:25] op_sel_hi:[1,0]
	v_mov_b32_e32 v190, v188
	v_pk_fma_f32 v[182:183], v[130:131], s[22:23], v[180:181] op_sel:[0,0,1] op_sel_hi:[1,0,0]
	v_pk_fma_f32 v[180:181], v[130:131], s[22:23], v[180:181] op_sel:[0,0,1] op_sel_hi:[1,0,0] neg_lo:[0,0,1] neg_hi:[0,0,1]
	v_mov_b32_e32 v184, v182
	v_mov_b32_e32 v185, v181
	v_pk_add_f32 v[162:163], v[184:185], v[162:163]
	ds_write2_b64 v65, v[156:157], v[162:163] offset0:2 offset1:3
	v_pk_mul_f32 v[156:157], v[152:153], s[20:21] op_sel_hi:[1,0]
	v_mov_b32_e32 v191, v187
	v_pk_fma_f32 v[162:163], v[150:151], s[18:19], v[156:157] op_sel:[0,0,1] op_sel_hi:[1,0,0]
	v_pk_fma_f32 v[156:157], v[150:151], s[18:19], v[156:157] op_sel:[0,0,1] op_sel_hi:[1,0,0] neg_lo:[0,0,1] neg_hi:[0,0,1]
	v_mov_b32_e32 v184, v162
	v_mov_b32_e32 v185, v157
	v_pk_add_f32 v[184:185], v[44:45], v[184:185]
	s_mov_b32 s40, 0x3f52af12
	v_pk_add_f32 v[184:185], v[190:191], v[184:185]
	v_pk_mul_f32 v[190:191], v[144:145], s[38:39] op_sel_hi:[1,0]
	v_pk_mul_f32 v[212:213], v[154:155], s[34:35] op_sel_hi:[1,0]
	v_pk_fma_f32 v[192:193], v[142:143], s[16:17], v[190:191] op_sel:[0,0,1] op_sel_hi:[1,0,0]
	v_pk_fma_f32 v[190:191], v[142:143], s[16:17], v[190:191] op_sel:[0,0,1] op_sel_hi:[1,0,0] neg_lo:[0,0,1] neg_hi:[0,0,1]
	v_mov_b32_e32 v194, v192
	v_mov_b32_e32 v195, v191
	v_pk_add_f32 v[184:185], v[194:195], v[184:185]
	v_pk_mul_f32 v[194:195], v[140:141], s[36:37] op_sel_hi:[1,0]
	s_mov_b32 s36, 0x3e750f2a
	v_pk_fma_f32 v[196:197], v[138:139], s[10:11], v[194:195] op_sel:[0,0,1] op_sel_hi:[1,0,0]
	v_pk_fma_f32 v[194:195], v[138:139], s[10:11], v[194:195] op_sel:[0,0,1] op_sel_hi:[1,0,0] neg_lo:[0,0,1] neg_hi:[0,0,1]
	v_mov_b32_e32 v198, v196
	v_mov_b32_e32 v199, v195
	v_pk_add_f32 v[184:185], v[198:199], v[184:185]
	v_pk_mul_f32 v[198:199], v[136:137], s[36:37] op_sel_hi:[1,0]
	v_pk_fma_f32 v[214:215], v[146:147], s[10:11], v[212:213] op_sel:[0,0,1] op_sel_hi:[1,0,0]
	v_pk_fma_f32 v[200:201], v[134:135], s[28:29], v[198:199] op_sel:[0,0,1] op_sel_hi:[1,0,0]
	v_pk_fma_f32 v[198:199], v[134:135], s[28:29], v[198:199] op_sel:[0,0,1] op_sel_hi:[1,0,0] neg_lo:[0,0,1] neg_hi:[0,0,1]
	v_mov_b32_e32 v202, v200
	v_mov_b32_e32 v203, v199
	v_pk_add_f32 v[184:185], v[202:203], v[184:185]
	v_pk_mul_f32 v[202:203], v[132:133], s[40:41] op_sel_hi:[1,0]
	v_pk_fma_f32 v[212:213], v[146:147], s[10:11], v[212:213] op_sel:[0,0,1] op_sel_hi:[1,0,0] neg_lo:[0,0,1] neg_hi:[0,0,1]
	v_pk_fma_f32 v[204:205], v[130:131], s[14:15], v[202:203] op_sel:[0,0,1] op_sel_hi:[1,0,0]
	v_pk_fma_f32 v[202:203], v[130:131], s[14:15], v[202:203] op_sel:[0,0,1] op_sel_hi:[1,0,0] neg_lo:[0,0,1] neg_hi:[0,0,1]
	v_mov_b32_e32 v206, v204
	v_mov_b32_e32 v207, v203
	v_pk_add_f32 v[184:185], v[206:207], v[184:185]
	v_pk_mul_f32 v[206:207], v[152:153], s[24:25] op_sel_hi:[1,0]
	v_mov_b32_e32 v216, v214
	v_pk_fma_f32 v[208:209], v[150:151], s[22:23], v[206:207] op_sel:[0,0,1] op_sel_hi:[1,0,0]
	v_pk_fma_f32 v[206:207], v[150:151], s[22:23], v[206:207] op_sel:[0,0,1] op_sel_hi:[1,0,0] neg_lo:[0,0,1] neg_hi:[0,0,1]
	v_mov_b32_e32 v210, v208
	v_mov_b32_e32 v211, v207
	v_pk_add_f32 v[210:211], v[44:45], v[210:211]
	v_mov_b32_e32 v217, v213
	v_pk_add_f32 v[210:211], v[216:217], v[210:211]
	v_pk_mul_f32 v[216:217], v[144:145], s[26:27] op_sel_hi:[1,0]
	v_pk_mul_f32 v[152:153], v[152:153], s[30:31] op_sel_hi:[1,0]
	v_pk_fma_f32 v[218:219], v[142:143], s[14:15], v[216:217] op_sel:[0,0,1] op_sel_hi:[1,0,0]
	v_pk_fma_f32 v[216:217], v[142:143], s[14:15], v[216:217] op_sel:[0,0,1] op_sel_hi:[1,0,0] neg_lo:[0,0,1] neg_hi:[0,0,1]
	v_mov_b32_e32 v220, v218
	v_mov_b32_e32 v221, v217
	v_pk_add_f32 v[210:211], v[220:221], v[210:211]
	v_pk_mul_f32 v[220:221], v[140:141], s[36:37] op_sel_hi:[1,0]
	v_pk_mul_f32 v[144:145], v[144:145], s[24:25] op_sel_hi:[1,0]
	v_pk_fma_f32 v[222:223], v[138:139], s[28:29], v[220:221] op_sel:[0,0,1] op_sel_hi:[1,0,0]
	v_pk_fma_f32 v[220:221], v[138:139], s[28:29], v[220:221] op_sel:[0,0,1] op_sel_hi:[1,0,0] neg_lo:[0,0,1] neg_hi:[0,0,1]
	v_mov_b32_e32 v224, v222
	;; [unrolled: 7-line block ×4, first 2 shown]
	v_mov_b32_e32 v233, v229
	v_pk_add_f32 v[210:211], v[232:233], v[210:211]
	ds_write2_b64 v65, v[184:185], v[210:211] offset0:4 offset1:5
	v_pk_fma_f32 v[184:185], v[150:151], s[28:29], v[152:153] op_sel:[0,0,1] op_sel_hi:[1,0,0]
	v_pk_fma_f32 v[150:151], v[150:151], s[28:29], v[152:153] op_sel:[0,0,1] op_sel_hi:[1,0,0] neg_lo:[0,0,1] neg_hi:[0,0,1]
	v_pk_mul_f32 v[152:153], v[154:155], s[38:39] op_sel_hi:[1,0]
	v_pk_mul_f32 v[132:133], v[132:133], s[34:35] op_sel_hi:[1,0]
	v_pk_fma_f32 v[154:155], v[146:147], s[16:17], v[152:153] op_sel:[0,0,1] op_sel_hi:[1,0,0]
	v_pk_fma_f32 v[146:147], v[146:147], s[16:17], v[152:153] op_sel:[0,0,1] op_sel_hi:[1,0,0] neg_lo:[0,0,1] neg_hi:[0,0,1]
	v_mov_b32_e32 v152, v184
	v_mov_b32_e32 v153, v151
	v_pk_add_f32 v[152:153], v[44:45], v[152:153]
	v_mov_b32_e32 v210, v154
	v_mov_b32_e32 v211, v147
	v_pk_add_f32 v[152:153], v[210:211], v[152:153]
	v_pk_fma_f32 v[210:211], v[142:143], s[22:23], v[144:145] op_sel:[0,0,1] op_sel_hi:[1,0,0]
	v_pk_fma_f32 v[142:143], v[142:143], s[22:23], v[144:145] op_sel:[0,0,1] op_sel_hi:[1,0,0] neg_lo:[0,0,1] neg_hi:[0,0,1]
	v_mov_b32_e32 v144, v210
	v_mov_b32_e32 v145, v143
	v_pk_add_f32 v[144:145], v[144:145], v[152:153]
	v_pk_fma_f32 v[152:153], v[138:139], s[14:15], v[140:141] op_sel:[0,0,1] op_sel_hi:[1,0,0]
	v_pk_fma_f32 v[138:139], v[138:139], s[14:15], v[140:141] op_sel:[0,0,1] op_sel_hi:[1,0,0] neg_lo:[0,0,1] neg_hi:[0,0,1]
	;; [unrolled: 5-line block ×4, first 2 shown]
	v_mov_b32_e32 v132, v140
	v_mov_b32_e32 v133, v131
	;; [unrolled: 1-line block ×3, first 2 shown]
	v_pk_add_f32 v[132:133], v[132:133], v[136:137]
	v_mov_b32_e32 v147, v155
	v_pk_add_f32 v[136:137], v[44:45], v[150:151]
	v_mov_b32_e32 v143, v211
	;; [unrolled: 2-line block ×7, first 2 shown]
	ds_write2_b64 v65, v[132:133], v[130:131] offset0:6 offset1:7
	v_pk_add_f32 v[130:131], v[44:45], v[206:207]
	v_mov_b32_e32 v213, v215
	v_pk_add_f32 v[132:133], v[44:45], v[156:157]
	v_mov_b32_e32 v187, v189
	;; [unrolled: 2-line block ×10, first 2 shown]
	v_pk_add_f32 v[130:131], v[228:229], v[130:131]
	v_pk_add_f32 v[132:133], v[202:203], v[132:133]
	v_mov_b32_e32 v159, v161
	v_mov_b32_e32 v109, v107
	;; [unrolled: 1-line block ×3, first 2 shown]
	ds_write2_b64 v65, v[130:131], v[132:133] offset0:8 offset1:9
	v_pk_add_f32 v[130:131], v[44:45], v[158:159]
	v_mov_b32_e32 v165, v167
	v_pk_add_f32 v[106:107], v[44:45], v[108:109]
	v_mov_b32_e32 v113, v111
	v_pk_add_f32 v[20:21], v[44:45], v[22:23]
	v_mov_b32_e32 v49, v47
	v_pk_add_f32 v[130:131], v[164:165], v[130:131]
	v_mov_b32_e32 v169, v171
	v_pk_add_f32 v[106:107], v[112:113], v[106:107]
	v_mov_b32_e32 v117, v115
	v_pk_add_f32 v[20:21], v[48:49], v[20:21]
	v_mov_b32_e32 v53, v51
	v_pk_add_f32 v[130:131], v[168:169], v[130:131]
	v_mov_b32_e32 v173, v175
	v_pk_add_f32 v[106:107], v[116:117], v[106:107]
	v_mov_b32_e32 v121, v119
	v_pk_add_f32 v[20:21], v[52:53], v[20:21]
	v_mov_b32_e32 v57, v55
	v_pk_add_f32 v[130:131], v[172:173], v[130:131]
	v_mov_b32_e32 v177, v179
	v_pk_add_f32 v[106:107], v[120:121], v[106:107]
	v_mov_b32_e32 v125, v123
	v_pk_add_f32 v[20:21], v[56:57], v[20:21]
	v_mov_b32_e32 v61, v59
	v_pk_add_f32 v[130:131], v[176:177], v[130:131]
	v_mov_b32_e32 v181, v183
	v_pk_add_f32 v[106:107], v[124:125], v[106:107]
	v_mov_b32_e32 v129, v127
	v_pk_add_f32 v[20:21], v[60:61], v[20:21]
	v_mov_b32_e32 v69, v63
	v_pk_add_f32 v[130:131], v[180:181], v[130:131]
	v_pk_add_f32 v[106:107], v[128:129], v[106:107]
	;; [unrolled: 1-line block ×3, first 2 shown]
	ds_write2_b64 v65, v[130:131], v[106:107] offset0:10 offset1:11
	ds_write_b64 v65, v[20:21] offset:96
.LBB0_13:
	s_or_b64 exec, exec, s[0:1]
	v_add_u32_e32 v46, 0x800, v64
	s_waitcnt lgkmcnt(0)
	s_barrier
	ds_read2_b64 v[48:51], v46 offset0:30 offset1:173
	ds_read2_b64 v[20:23], v64 offset1:143
	v_add_u32_e32 v45, 0x1000, v64
	ds_read2_b64 v[52:55], v45 offset0:60 offset1:203
	v_add_u32_e32 v44, 0x1800, v64
	s_waitcnt lgkmcnt(2)
	v_pk_mul_f32 v[2:3], v[2:3], v[48:49]
	ds_read2_b64 v[56:59], v44 offset0:90 offset1:233
	v_pk_fma_f32 v[106:107], v[104:105], v[48:49], v[2:3] op_sel:[0,0,1] op_sel_hi:[1,1,0]
	v_pk_fma_f32 v[2:3], v[104:105], v[48:49], v[2:3] op_sel:[0,0,1] op_sel_hi:[1,1,0] neg_lo:[0,0,1] neg_hi:[0,0,1]
	v_add_u32_e32 v47, 0x2200, v64
	v_mov_b32_e32 v107, v3
	v_pk_mul_f32 v[2:3], v[16:17], v[50:51]
	ds_read2_b64 v[60:63], v47 offset0:56 offset1:199
	ds_read_b64 v[68:69], v64 offset:11440
	v_pk_fma_f32 v[16:17], v[102:103], v[50:51], v[2:3] op_sel:[0,0,1] op_sel_hi:[1,1,0]
	v_pk_fma_f32 v[2:3], v[102:103], v[50:51], v[2:3] op_sel:[0,0,1] op_sel_hi:[1,1,0] neg_lo:[0,0,1] neg_hi:[0,0,1]
	s_mov_b32 s18, 0xbf0a6770
	v_mov_b32_e32 v17, v3
	s_waitcnt lgkmcnt(3)
	v_pk_mul_f32 v[2:3], v[18:19], v[52:53]
	s_mov_b32 s0, 0x3f575c64
	v_pk_fma_f32 v[18:19], v[100:101], v[52:53], v[2:3] op_sel:[0,0,1] op_sel_hi:[1,1,0]
	v_pk_fma_f32 v[2:3], v[100:101], v[52:53], v[2:3] op_sel:[0,0,1] op_sel_hi:[1,1,0] neg_lo:[0,0,1] neg_hi:[0,0,1]
	s_mov_b32 s34, 0xbf68dda4
	v_mov_b32_e32 v19, v3
	v_pk_mul_f32 v[2:3], v[12:13], v[54:55]
	s_movk_i32 s11, 0x1000
	v_pk_fma_f32 v[12:13], v[98:99], v[54:55], v[2:3] op_sel:[0,0,1] op_sel_hi:[1,1,0]
	v_pk_fma_f32 v[2:3], v[98:99], v[54:55], v[2:3] op_sel:[0,0,1] op_sel_hi:[1,1,0] neg_lo:[0,0,1] neg_hi:[0,0,1]
	s_mov_b32 s10, 0x3ed4b147
	v_mov_b32_e32 v13, v3
	s_waitcnt lgkmcnt(2)
	v_pk_mul_f32 v[2:3], v[14:15], v[56:57]
	s_mov_b32 s16, 0xbf7d64f0
	v_pk_fma_f32 v[14:15], v[96:97], v[56:57], v[2:3] op_sel:[0,0,1] op_sel_hi:[1,1,0]
	v_pk_fma_f32 v[2:3], v[96:97], v[56:57], v[2:3] op_sel:[0,0,1] op_sel_hi:[1,1,0] neg_lo:[0,0,1] neg_hi:[0,0,1]
	s_mov_b32 s14, 0xbe11bafb
	v_mov_b32_e32 v15, v3
	v_pk_mul_f32 v[2:3], v[4:5], v[58:59]
	s_mov_b32 s22, 0xbf4178ce
	v_pk_fma_f32 v[4:5], v[94:95], v[58:59], v[2:3] op_sel:[0,0,1] op_sel_hi:[1,1,0]
	v_pk_fma_f32 v[2:3], v[94:95], v[58:59], v[2:3] op_sel:[0,0,1] op_sel_hi:[1,1,0] neg_lo:[0,0,1] neg_hi:[0,0,1]
	s_mov_b32 s20, 0xbf27a4f4
	v_mov_b32_e32 v5, v3
	s_waitcnt lgkmcnt(1)
	v_pk_mul_f32 v[2:3], v[6:7], v[60:61]
	s_mov_b32 s26, 0xbe903f40
	v_pk_fma_f32 v[6:7], v[92:93], v[60:61], v[2:3] op_sel:[0,0,1] op_sel_hi:[1,1,0]
	v_pk_fma_f32 v[2:3], v[92:93], v[60:61], v[2:3] op_sel:[0,0,1] op_sel_hi:[1,1,0] neg_lo:[0,0,1] neg_hi:[0,0,1]
	s_mov_b32 s24, 0xbf75a155
	v_mov_b32_e32 v7, v3
	v_pk_mul_f32 v[2:3], v[8:9], v[62:63]
	s_waitcnt lgkmcnt(0)
	v_pk_fma_f32 v[8:9], v[90:91], v[62:63], v[2:3] op_sel:[0,0,1] op_sel_hi:[1,1,0]
	v_pk_fma_f32 v[2:3], v[90:91], v[62:63], v[2:3] op_sel:[0,0,1] op_sel_hi:[1,1,0] neg_lo:[0,0,1] neg_hi:[0,0,1]
	s_barrier
	v_mov_b32_e32 v9, v3
	v_pk_mul_f32 v[2:3], v[10:11], v[68:69]
	v_pk_add_f32 v[52:53], v[106:107], v[8:9]
	v_pk_fma_f32 v[10:11], v[88:89], v[68:69], v[2:3] op_sel:[0,0,1] op_sel_hi:[1,1,0]
	v_pk_fma_f32 v[2:3], v[88:89], v[68:69], v[2:3] op_sel:[0,0,1] op_sel_hi:[1,1,0] neg_lo:[0,0,1] neg_hi:[0,0,1]
	s_nop 0
	v_mov_b32_e32 v11, v3
	v_pk_mul_f32 v[2:3], v[0:1], v[22:23] op_sel:[1,0]
	s_mov_b32 s38, 0x3e903f40
	v_pk_fma_f32 v[48:49], v[0:1], v[22:23], v[2:3] op_sel:[0,0,1] op_sel_hi:[1,1,0]
	v_pk_fma_f32 v[0:1], v[0:1], v[22:23], v[2:3] op_sel:[0,0,1] op_sel_hi:[0,1,0] neg_lo:[0,0,1] neg_hi:[0,0,1]
	v_mov_b32_e32 v49, v1
	v_pk_add_f32 v[0:1], v[20:21], v[48:49]
	v_pk_add_f32 v[2:3], v[48:49], v[10:11]
	;; [unrolled: 1-line block ×3, first 2 shown]
	s_mov_b32 s36, 0x3f7d64f0
	v_pk_add_f32 v[0:1], v[0:1], v[16:17]
	s_mov_b32 s28, 0x3f0a6770
	v_pk_add_f32 v[0:1], v[0:1], v[18:19]
	;; [unrolled: 2-line block ×3, first 2 shown]
	s_nop 0
	v_pk_add_f32 v[0:1], v[0:1], v[14:15]
	s_nop 0
	v_pk_add_f32 v[0:1], v[0:1], v[4:5]
	;; [unrolled: 2-line block ×4, first 2 shown]
	v_pk_add_f32 v[8:9], v[106:107], v[8:9] neg_lo:[0,1] neg_hi:[0,1]
	v_pk_add_f32 v[0:1], v[0:1], v[10:11]
	v_pk_add_f32 v[10:11], v[48:49], v[10:11] neg_lo:[0,1] neg_hi:[0,1]
	v_pk_mul_f32 v[54:55], v[8:9], s[34:35] op_sel_hi:[1,0]
	v_pk_mul_f32 v[22:23], v[10:11], s[18:19] op_sel_hi:[1,0]
	v_pk_fma_f32 v[56:57], v[52:53], s[10:11], v[54:55] op_sel:[0,0,1] op_sel_hi:[1,0,0]
	v_pk_fma_f32 v[48:49], v[2:3], s[0:1], v[22:23] op_sel:[0,0,1] op_sel_hi:[1,0,0]
	v_pk_fma_f32 v[22:23], v[2:3], s[0:1], v[22:23] op_sel:[0,0,1] op_sel_hi:[1,0,0] neg_lo:[0,0,1] neg_hi:[0,0,1]
	v_mov_b32_e32 v50, v48
	v_mov_b32_e32 v51, v23
	v_pk_fma_f32 v[54:55], v[52:53], s[10:11], v[54:55] op_sel:[0,0,1] op_sel_hi:[1,0,0] neg_lo:[0,0,1] neg_hi:[0,0,1]
	v_pk_add_f32 v[50:51], v[20:21], v[50:51]
	v_mov_b32_e32 v58, v56
	v_mov_b32_e32 v59, v55
	v_pk_add_f32 v[50:51], v[58:59], v[50:51]
	v_pk_add_f32 v[58:59], v[16:17], v[6:7]
	v_pk_add_f32 v[6:7], v[16:17], v[6:7] neg_lo:[0,1] neg_hi:[0,1]
	v_pk_mul_f32 v[94:95], v[8:9], s[22:23] op_sel_hi:[1,0]
	v_pk_mul_f32 v[16:17], v[6:7], s[16:17] op_sel_hi:[1,0]
	v_pk_fma_f32 v[96:97], v[52:53], s[20:21], v[94:95] op_sel:[0,0,1] op_sel_hi:[1,0,0]
	v_pk_fma_f32 v[60:61], v[58:59], s[14:15], v[16:17] op_sel:[0,0,1] op_sel_hi:[1,0,0]
	v_pk_fma_f32 v[16:17], v[58:59], s[14:15], v[16:17] op_sel:[0,0,1] op_sel_hi:[1,0,0] neg_lo:[0,0,1] neg_hi:[0,0,1]
	v_mov_b32_e32 v62, v60
	v_mov_b32_e32 v63, v17
	v_pk_add_f32 v[50:51], v[62:63], v[50:51]
	v_pk_add_f32 v[62:63], v[18:19], v[4:5]
	v_pk_add_f32 v[4:5], v[18:19], v[4:5] neg_lo:[0,1] neg_hi:[0,1]
	v_pk_fma_f32 v[94:95], v[52:53], s[20:21], v[94:95] op_sel:[0,0,1] op_sel_hi:[1,0,0] neg_lo:[0,0,1] neg_hi:[0,0,1]
	v_pk_mul_f32 v[18:19], v[4:5], s[22:23] op_sel_hi:[1,0]
	v_mov_b32_e32 v98, v96
	v_pk_fma_f32 v[68:69], v[62:63], s[20:21], v[18:19] op_sel:[0,0,1] op_sel_hi:[1,0,0]
	v_pk_fma_f32 v[18:19], v[62:63], s[20:21], v[18:19] op_sel:[0,0,1] op_sel_hi:[1,0,0] neg_lo:[0,0,1] neg_hi:[0,0,1]
	v_mov_b32_e32 v88, v68
	v_mov_b32_e32 v89, v19
	v_pk_add_f32 v[50:51], v[88:89], v[50:51]
	v_pk_add_f32 v[88:89], v[12:13], v[14:15]
	v_pk_add_f32 v[12:13], v[12:13], v[14:15] neg_lo:[0,1] neg_hi:[0,1]
	v_mov_b32_e32 v99, v95
	v_pk_mul_f32 v[14:15], v[12:13], s[26:27] op_sel_hi:[1,0]
	v_pk_mul_f32 v[116:117], v[8:9], s[38:39] op_sel_hi:[1,0]
	v_pk_fma_f32 v[90:91], v[88:89], s[24:25], v[14:15] op_sel:[0,0,1] op_sel_hi:[1,0,0]
	v_pk_fma_f32 v[14:15], v[88:89], s[24:25], v[14:15] op_sel:[0,0,1] op_sel_hi:[1,0,0] neg_lo:[0,0,1] neg_hi:[0,0,1]
	v_mov_b32_e32 v92, v90
	v_mov_b32_e32 v93, v15
	v_pk_add_f32 v[50:51], v[92:93], v[50:51]
	ds_write2_b64 v148, v[0:1], v[50:51] offset1:13
	v_pk_mul_f32 v[0:1], v[10:11], s[34:35] op_sel_hi:[1,0]
	v_pk_fma_f32 v[118:119], v[52:53], s[24:25], v[116:117] op_sel:[0,0,1] op_sel_hi:[1,0,0]
	v_pk_fma_f32 v[50:51], v[2:3], s[10:11], v[0:1] op_sel:[0,0,1] op_sel_hi:[1,0,0]
	v_pk_fma_f32 v[0:1], v[2:3], s[10:11], v[0:1] op_sel:[0,0,1] op_sel_hi:[1,0,0] neg_lo:[0,0,1] neg_hi:[0,0,1]
	v_mov_b32_e32 v92, v50
	v_mov_b32_e32 v93, v1
	v_pk_add_f32 v[92:93], v[20:21], v[92:93]
	v_pk_fma_f32 v[116:117], v[52:53], s[24:25], v[116:117] op_sel:[0,0,1] op_sel_hi:[1,0,0] neg_lo:[0,0,1] neg_hi:[0,0,1]
	v_pk_add_f32 v[92:93], v[98:99], v[92:93]
	v_pk_mul_f32 v[98:99], v[6:7], s[38:39] op_sel_hi:[1,0]
	v_mov_b32_e32 v120, v118
	v_pk_fma_f32 v[100:101], v[58:59], s[24:25], v[98:99] op_sel:[0,0,1] op_sel_hi:[1,0,0]
	v_pk_fma_f32 v[98:99], v[58:59], s[24:25], v[98:99] op_sel:[0,0,1] op_sel_hi:[1,0,0] neg_lo:[0,0,1] neg_hi:[0,0,1]
	v_mov_b32_e32 v102, v100
	v_mov_b32_e32 v103, v99
	v_pk_add_f32 v[92:93], v[102:103], v[92:93]
	v_pk_mul_f32 v[102:103], v[4:5], s[36:37] op_sel_hi:[1,0]
	v_mov_b32_e32 v121, v117
	v_pk_fma_f32 v[104:105], v[62:63], s[14:15], v[102:103] op_sel:[0,0,1] op_sel_hi:[1,0,0]
	v_pk_fma_f32 v[102:103], v[62:63], s[14:15], v[102:103] op_sel:[0,0,1] op_sel_hi:[1,0,0] neg_lo:[0,0,1] neg_hi:[0,0,1]
	v_mov_b32_e32 v106, v104
	v_mov_b32_e32 v107, v103
	v_pk_add_f32 v[92:93], v[106:107], v[92:93]
	v_pk_mul_f32 v[106:107], v[12:13], s[28:29] op_sel_hi:[1,0]
	v_pk_mul_f32 v[134:135], v[8:9], s[36:37] op_sel_hi:[1,0]
	v_pk_fma_f32 v[108:109], v[88:89], s[0:1], v[106:107] op_sel:[0,0,1] op_sel_hi:[1,0,0]
	v_pk_fma_f32 v[106:107], v[88:89], s[0:1], v[106:107] op_sel:[0,0,1] op_sel_hi:[1,0,0] neg_lo:[0,0,1] neg_hi:[0,0,1]
	v_mov_b32_e32 v110, v108
	v_mov_b32_e32 v111, v107
	v_pk_add_f32 v[92:93], v[110:111], v[92:93]
	v_pk_mul_f32 v[110:111], v[10:11], s[16:17] op_sel_hi:[1,0]
	v_pk_fma_f32 v[136:137], v[52:53], s[14:15], v[134:135] op_sel:[0,0,1] op_sel_hi:[1,0,0]
	v_pk_fma_f32 v[112:113], v[2:3], s[14:15], v[110:111] op_sel:[0,0,1] op_sel_hi:[1,0,0]
	v_pk_fma_f32 v[110:111], v[2:3], s[14:15], v[110:111] op_sel:[0,0,1] op_sel_hi:[1,0,0] neg_lo:[0,0,1] neg_hi:[0,0,1]
	v_mov_b32_e32 v114, v112
	v_mov_b32_e32 v115, v111
	v_pk_add_f32 v[114:115], v[20:21], v[114:115]
	v_pk_fma_f32 v[134:135], v[52:53], s[14:15], v[134:135] op_sel:[0,0,1] op_sel_hi:[1,0,0] neg_lo:[0,0,1] neg_hi:[0,0,1]
	v_pk_add_f32 v[114:115], v[120:121], v[114:115]
	v_pk_mul_f32 v[120:121], v[6:7], s[30:31] op_sel_hi:[1,0]
	v_mov_b32_e32 v138, v136
	v_pk_fma_f32 v[122:123], v[58:59], s[10:11], v[120:121] op_sel:[0,0,1] op_sel_hi:[1,0,0]
	v_pk_fma_f32 v[120:121], v[58:59], s[10:11], v[120:121] op_sel:[0,0,1] op_sel_hi:[1,0,0] neg_lo:[0,0,1] neg_hi:[0,0,1]
	v_mov_b32_e32 v124, v122
	v_mov_b32_e32 v125, v121
	v_pk_add_f32 v[114:115], v[124:125], v[114:115]
	v_pk_mul_f32 v[124:125], v[4:5], s[18:19] op_sel_hi:[1,0]
	v_mov_b32_e32 v139, v135
	v_pk_fma_f32 v[126:127], v[62:63], s[0:1], v[124:125] op_sel:[0,0,1] op_sel_hi:[1,0,0]
	v_pk_fma_f32 v[124:125], v[62:63], s[0:1], v[124:125] op_sel:[0,0,1] op_sel_hi:[1,0,0] neg_lo:[0,0,1] neg_hi:[0,0,1]
	v_mov_b32_e32 v128, v126
	v_mov_b32_e32 v129, v125
	v_pk_add_f32 v[114:115], v[128:129], v[114:115]
	v_pk_mul_f32 v[128:129], v[12:13], s[22:23] op_sel_hi:[1,0]
	v_pk_mul_f32 v[8:9], v[8:9], s[28:29] op_sel_hi:[1,0]
	v_pk_fma_f32 v[130:131], v[88:89], s[20:21], v[128:129] op_sel:[0,0,1] op_sel_hi:[1,0,0]
	v_pk_fma_f32 v[128:129], v[88:89], s[20:21], v[128:129] op_sel:[0,0,1] op_sel_hi:[1,0,0] neg_lo:[0,0,1] neg_hi:[0,0,1]
	v_mov_b32_e32 v132, v130
	v_mov_b32_e32 v133, v129
	v_pk_add_f32 v[114:115], v[132:133], v[114:115]
	ds_write2_b64 v148, v[92:93], v[114:115] offset0:26 offset1:39
	v_pk_mul_f32 v[92:93], v[10:11], s[22:23] op_sel_hi:[1,0]
	v_pk_mul_f32 v[10:11], v[10:11], s[26:27] op_sel_hi:[1,0]
	v_pk_fma_f32 v[114:115], v[2:3], s[20:21], v[92:93] op_sel:[0,0,1] op_sel_hi:[1,0,0]
	v_pk_fma_f32 v[92:93], v[2:3], s[20:21], v[92:93] op_sel:[0,0,1] op_sel_hi:[1,0,0] neg_lo:[0,0,1] neg_hi:[0,0,1]
	v_mov_b32_e32 v132, v114
	v_mov_b32_e32 v133, v93
	v_pk_add_f32 v[132:133], v[20:21], v[132:133]
	v_pk_fma_f32 v[154:155], v[52:53], s[0:1], v[8:9] op_sel:[0,0,1] op_sel_hi:[1,0,0]
	v_pk_add_f32 v[132:133], v[138:139], v[132:133]
	v_pk_mul_f32 v[138:139], v[6:7], s[18:19] op_sel_hi:[1,0]
	v_pk_fma_f32 v[8:9], v[52:53], s[0:1], v[8:9] op_sel:[0,0,1] op_sel_hi:[1,0,0] neg_lo:[0,0,1] neg_hi:[0,0,1]
	v_pk_fma_f32 v[140:141], v[58:59], s[0:1], v[138:139] op_sel:[0,0,1] op_sel_hi:[1,0,0]
	v_pk_fma_f32 v[138:139], v[58:59], s[0:1], v[138:139] op_sel:[0,0,1] op_sel_hi:[1,0,0] neg_lo:[0,0,1] neg_hi:[0,0,1]
	v_mov_b32_e32 v142, v140
	v_mov_b32_e32 v143, v139
	v_pk_add_f32 v[132:133], v[142:143], v[132:133]
	v_pk_mul_f32 v[142:143], v[4:5], s[26:27] op_sel_hi:[1,0]
	v_mov_b32_e32 v52, v154
	v_pk_fma_f32 v[144:145], v[62:63], s[24:25], v[142:143] op_sel:[0,0,1] op_sel_hi:[1,0,0]
	v_pk_fma_f32 v[142:143], v[62:63], s[24:25], v[142:143] op_sel:[0,0,1] op_sel_hi:[1,0,0] neg_lo:[0,0,1] neg_hi:[0,0,1]
	v_mov_b32_e32 v146, v144
	v_mov_b32_e32 v147, v143
	v_pk_add_f32 v[132:133], v[146:147], v[132:133]
	v_pk_mul_f32 v[146:147], v[12:13], s[30:31] op_sel_hi:[1,0]
	v_mov_b32_e32 v53, v9
	v_pk_fma_f32 v[150:151], v[88:89], s[10:11], v[146:147] op_sel:[0,0,1] op_sel_hi:[1,0,0]
	v_pk_fma_f32 v[146:147], v[88:89], s[10:11], v[146:147] op_sel:[0,0,1] op_sel_hi:[1,0,0] neg_lo:[0,0,1] neg_hi:[0,0,1]
	v_mov_b32_e32 v152, v150
	v_mov_b32_e32 v153, v147
	v_pk_add_f32 v[132:133], v[152:153], v[132:133]
	v_pk_fma_f32 v[152:153], v[2:3], s[24:25], v[10:11] op_sel:[0,0,1] op_sel_hi:[1,0,0]
	v_pk_fma_f32 v[2:3], v[2:3], s[24:25], v[10:11] op_sel:[0,0,1] op_sel_hi:[1,0,0] neg_lo:[0,0,1] neg_hi:[0,0,1]
	v_mov_b32_e32 v10, v152
	v_mov_b32_e32 v11, v3
	v_pk_add_f32 v[10:11], v[20:21], v[10:11]
	v_pk_mul_f32 v[6:7], v[6:7], s[22:23] op_sel_hi:[1,0]
	v_pk_add_f32 v[10:11], v[52:53], v[10:11]
	v_pk_fma_f32 v[52:53], v[58:59], s[20:21], v[6:7] op_sel:[0,0,1] op_sel_hi:[1,0,0]
	v_pk_fma_f32 v[6:7], v[58:59], s[20:21], v[6:7] op_sel:[0,0,1] op_sel_hi:[1,0,0] neg_lo:[0,0,1] neg_hi:[0,0,1]
	v_mov_b32_e32 v3, v153
	v_mov_b32_e32 v58, v52
	;; [unrolled: 1-line block ×3, first 2 shown]
	v_pk_mul_f32 v[4:5], v[4:5], s[30:31] op_sel_hi:[1,0]
	v_pk_add_f32 v[2:3], v[20:21], v[2:3]
	v_mov_b32_e32 v9, v155
	v_pk_add_f32 v[10:11], v[58:59], v[10:11]
	v_pk_fma_f32 v[58:59], v[62:63], s[10:11], v[4:5] op_sel:[0,0,1] op_sel_hi:[1,0,0]
	v_pk_fma_f32 v[4:5], v[62:63], s[10:11], v[4:5] op_sel:[0,0,1] op_sel_hi:[1,0,0] neg_lo:[0,0,1] neg_hi:[0,0,1]
	v_pk_add_f32 v[2:3], v[8:9], v[2:3]
	v_mov_b32_e32 v7, v53
	v_mov_b32_e32 v63, v5
	v_pk_add_f32 v[2:3], v[6:7], v[2:3]
	v_mov_b32_e32 v5, v59
	v_mov_b32_e32 v93, v115
	v_pk_add_f32 v[2:3], v[4:5], v[2:3]
	v_pk_add_f32 v[4:5], v[20:21], v[92:93]
	v_mov_b32_e32 v135, v137
	v_mov_b32_e32 v62, v58
	v_pk_mul_f32 v[12:13], v[12:13], s[16:17] op_sel_hi:[1,0]
	v_pk_add_f32 v[4:5], v[134:135], v[4:5]
	v_mov_b32_e32 v139, v141
	v_pk_add_f32 v[10:11], v[62:63], v[10:11]
	v_pk_fma_f32 v[62:63], v[88:89], s[14:15], v[12:13] op_sel:[0,0,1] op_sel_hi:[1,0,0]
	v_pk_fma_f32 v[12:13], v[88:89], s[14:15], v[12:13] op_sel:[0,0,1] op_sel_hi:[1,0,0] neg_lo:[0,0,1] neg_hi:[0,0,1]
	v_pk_add_f32 v[4:5], v[138:139], v[4:5]
	v_mov_b32_e32 v143, v145
	v_mov_b32_e32 v89, v13
	;; [unrolled: 1-line block ×3, first 2 shown]
	v_pk_add_f32 v[4:5], v[142:143], v[4:5]
	v_mov_b32_e32 v147, v151
	v_pk_add_f32 v[2:3], v[12:13], v[2:3]
	v_pk_add_f32 v[4:5], v[146:147], v[4:5]
	v_mov_b32_e32 v111, v113
	v_mov_b32_e32 v1, v51
	ds_write2_b64 v148, v[2:3], v[4:5] offset0:78 offset1:91
	v_pk_add_f32 v[2:3], v[20:21], v[110:111]
	v_mov_b32_e32 v117, v119
	v_pk_add_f32 v[0:1], v[20:21], v[0:1]
	v_mov_b32_e32 v95, v97
	;; [unrolled: 2-line block ×8, first 2 shown]
	v_pk_add_f32 v[2:3], v[128:129], v[2:3]
	v_pk_add_f32 v[0:1], v[106:107], v[0:1]
	v_mov_b32_e32 v23, v49
	ds_write2_b64 v148, v[2:3], v[0:1] offset0:104 offset1:117
	v_pk_add_f32 v[0:1], v[20:21], v[22:23]
	v_mov_b32_e32 v55, v57
	v_pk_add_f32 v[0:1], v[54:55], v[0:1]
	v_mov_b32_e32 v17, v61
	;; [unrolled: 2-line block ×3, first 2 shown]
	v_mov_b32_e32 v88, v62
	v_pk_add_f32 v[0:1], v[18:19], v[0:1]
	v_mov_b32_e32 v15, v91
	v_pk_add_f32 v[10:11], v[88:89], v[10:11]
	v_pk_add_f32 v[0:1], v[14:15], v[0:1]
	ds_write2_b64 v148, v[132:133], v[10:11] offset0:52 offset1:65
	ds_write_b64 v148, v[0:1] offset:1040
	s_waitcnt lgkmcnt(0)
	s_barrier
	ds_read2_b64 v[4:7], v46 offset0:30 offset1:173
	ds_read2_b64 v[0:3], v64 offset1:143
	ds_read2_b64 v[8:11], v45 offset0:60 offset1:203
	ds_read2_b64 v[12:15], v44 offset0:90 offset1:233
	;; [unrolled: 1-line block ×3, first 2 shown]
	ds_read_b64 v[20:21], v64 offset:11440
	s_waitcnt lgkmcnt(5)
	v_pk_mul_f32 v[22:23], v[26:27], v[4:5]
	s_nop 0
	v_pk_fma_f32 v[26:27], v[86:87], v[4:5], v[22:23] op_sel:[0,0,1] op_sel_hi:[1,1,0]
	v_pk_fma_f32 v[4:5], v[86:87], v[4:5], v[22:23] op_sel:[0,0,1] op_sel_hi:[1,1,0] neg_lo:[0,0,1] neg_hi:[0,0,1]
	s_nop 0
	v_mov_b32_e32 v27, v5
	v_pk_mul_f32 v[4:5], v[40:41], v[6:7]
	s_nop 0
	v_pk_fma_f32 v[22:23], v[84:85], v[6:7], v[4:5] op_sel:[0,0,1] op_sel_hi:[1,1,0]
	v_pk_fma_f32 v[4:5], v[84:85], v[6:7], v[4:5] op_sel:[0,0,1] op_sel_hi:[1,1,0] neg_lo:[0,0,1] neg_hi:[0,0,1]
	s_nop 0
	v_mov_b32_e32 v23, v5
	s_waitcnt lgkmcnt(3)
	v_pk_mul_f32 v[4:5], v[42:43], v[8:9]
	s_nop 0
	v_pk_fma_f32 v[6:7], v[78:79], v[8:9], v[4:5] op_sel:[0,0,1] op_sel_hi:[1,1,0]
	v_pk_fma_f32 v[4:5], v[78:79], v[8:9], v[4:5] op_sel:[0,0,1] op_sel_hi:[1,1,0] neg_lo:[0,0,1] neg_hi:[0,0,1]
	s_nop 0
	v_mov_b32_e32 v7, v5
	v_pk_mul_f32 v[4:5], v[36:37], v[10:11]
	s_nop 0
	v_pk_fma_f32 v[8:9], v[76:77], v[10:11], v[4:5] op_sel:[0,0,1] op_sel_hi:[1,1,0]
	v_pk_fma_f32 v[4:5], v[76:77], v[10:11], v[4:5] op_sel:[0,0,1] op_sel_hi:[1,1,0] neg_lo:[0,0,1] neg_hi:[0,0,1]
	s_nop 0
	v_mov_b32_e32 v9, v5
	;; [unrolled: 13-line block ×3, first 2 shown]
	s_waitcnt lgkmcnt(1)
	v_pk_mul_f32 v[4:5], v[30:31], v[16:17] op_sel:[1,0]
	s_nop 0
	v_pk_fma_f32 v[14:15], v[30:31], v[16:17], v[4:5] op_sel:[0,0,1] op_sel_hi:[1,1,0]
	v_pk_fma_f32 v[4:5], v[30:31], v[16:17], v[4:5] op_sel:[0,0,1] op_sel_hi:[0,1,0] neg_lo:[0,0,1] neg_hi:[0,0,1]
	v_mov_b32_e32 v15, v5
	v_pk_mul_f32 v[4:5], v[32:33], v[18:19]
	s_nop 0
	v_pk_fma_f32 v[16:17], v[82:83], v[18:19], v[4:5] op_sel:[0,0,1] op_sel_hi:[1,1,0]
	v_pk_fma_f32 v[4:5], v[82:83], v[18:19], v[4:5] op_sel:[0,0,1] op_sel_hi:[1,1,0] neg_lo:[0,0,1] neg_hi:[0,0,1]
	s_nop 0
	v_mov_b32_e32 v17, v5
	s_waitcnt lgkmcnt(0)
	v_pk_mul_f32 v[4:5], v[34:35], v[20:21]
	v_pk_add_f32 v[30:31], v[26:27], v[16:17]
	v_pk_fma_f32 v[18:19], v[80:81], v[20:21], v[4:5] op_sel:[0,0,1] op_sel_hi:[1,1,0]
	v_pk_fma_f32 v[4:5], v[80:81], v[20:21], v[4:5] op_sel:[0,0,1] op_sel_hi:[1,1,0] neg_lo:[0,0,1] neg_hi:[0,0,1]
	s_nop 0
	v_mov_b32_e32 v19, v5
	v_pk_mul_f32 v[4:5], v[24:25], v[2:3]
	s_nop 0
	v_pk_fma_f32 v[20:21], v[70:71], v[2:3], v[4:5] op_sel:[0,0,1] op_sel_hi:[1,1,0]
	v_pk_fma_f32 v[2:3], v[70:71], v[2:3], v[4:5] op_sel:[0,0,1] op_sel_hi:[1,1,0] neg_lo:[0,0,1] neg_hi:[0,0,1]
	s_nop 0
	v_mov_b32_e32 v21, v3
	v_pk_add_f32 v[2:3], v[0:1], v[20:21]
	v_pk_add_f32 v[4:5], v[20:21], v[18:19]
	;; [unrolled: 1-line block ×3, first 2 shown]
	s_nop 0
	v_pk_add_f32 v[2:3], v[2:3], v[22:23]
	s_nop 0
	v_pk_add_f32 v[2:3], v[2:3], v[6:7]
	;; [unrolled: 2-line block ×7, first 2 shown]
	v_pk_add_f32 v[16:17], v[26:27], v[16:17] neg_lo:[0,1] neg_hi:[0,1]
	v_pk_add_f32 v[2:3], v[2:3], v[18:19]
	v_pk_add_f32 v[18:19], v[20:21], v[18:19] neg_lo:[0,1] neg_hi:[0,1]
	v_pk_mul_f32 v[26:27], v[16:17], s[34:35] op_sel_hi:[1,0]
	v_pk_mul_f32 v[20:21], v[18:19], s[18:19] op_sel_hi:[1,0]
	v_pk_fma_f32 v[32:33], v[30:31], s[10:11], v[26:27] op_sel:[0,0,1] op_sel_hi:[1,0,0]
	v_pk_fma_f32 v[24:25], v[4:5], s[0:1], v[20:21] op_sel:[0,0,1] op_sel_hi:[1,0,0]
	v_pk_fma_f32 v[20:21], v[4:5], s[0:1], v[20:21] op_sel:[0,0,1] op_sel_hi:[1,0,0] neg_lo:[0,0,1] neg_hi:[0,0,1]
	v_mov_b32_e32 v28, v24
	v_mov_b32_e32 v29, v21
	v_pk_fma_f32 v[26:27], v[30:31], s[10:11], v[26:27] op_sel:[0,0,1] op_sel_hi:[1,0,0] neg_lo:[0,0,1] neg_hi:[0,0,1]
	v_pk_add_f32 v[28:29], v[0:1], v[28:29]
	v_mov_b32_e32 v34, v32
	v_mov_b32_e32 v35, v27
	v_pk_add_f32 v[28:29], v[34:35], v[28:29]
	v_pk_add_f32 v[34:35], v[22:23], v[14:15]
	v_pk_add_f32 v[14:15], v[22:23], v[14:15] neg_lo:[0,1] neg_hi:[0,1]
	v_pk_mul_f32 v[52:53], v[16:17], s[22:23] op_sel_hi:[1,0]
	v_pk_mul_f32 v[22:23], v[14:15], s[16:17] op_sel_hi:[1,0]
	v_pk_fma_f32 v[54:55], v[30:31], s[20:21], v[52:53] op_sel:[0,0,1] op_sel_hi:[1,0,0]
	v_pk_fma_f32 v[36:37], v[34:35], s[14:15], v[22:23] op_sel:[0,0,1] op_sel_hi:[1,0,0]
	v_pk_fma_f32 v[22:23], v[34:35], s[14:15], v[22:23] op_sel:[0,0,1] op_sel_hi:[1,0,0] neg_lo:[0,0,1] neg_hi:[0,0,1]
	v_mov_b32_e32 v38, v36
	v_mov_b32_e32 v39, v23
	v_pk_add_f32 v[28:29], v[38:39], v[28:29]
	v_pk_add_f32 v[38:39], v[6:7], v[12:13]
	v_pk_add_f32 v[6:7], v[6:7], v[12:13] neg_lo:[0,1] neg_hi:[0,1]
	v_pk_fma_f32 v[52:53], v[30:31], s[20:21], v[52:53] op_sel:[0,0,1] op_sel_hi:[1,0,0] neg_lo:[0,0,1] neg_hi:[0,0,1]
	v_pk_mul_f32 v[12:13], v[6:7], s[22:23] op_sel_hi:[1,0]
	v_mov_b32_e32 v56, v54
	v_pk_fma_f32 v[40:41], v[38:39], s[20:21], v[12:13] op_sel:[0,0,1] op_sel_hi:[1,0,0]
	v_pk_fma_f32 v[12:13], v[38:39], s[20:21], v[12:13] op_sel:[0,0,1] op_sel_hi:[1,0,0] neg_lo:[0,0,1] neg_hi:[0,0,1]
	v_mov_b32_e32 v42, v40
	v_mov_b32_e32 v43, v13
	v_pk_add_f32 v[28:29], v[42:43], v[28:29]
	v_pk_add_f32 v[42:43], v[8:9], v[10:11]
	v_pk_add_f32 v[8:9], v[8:9], v[10:11] neg_lo:[0,1] neg_hi:[0,1]
	v_mov_b32_e32 v57, v53
	v_pk_mul_f32 v[10:11], v[8:9], s[26:27] op_sel_hi:[1,0]
	v_pk_mul_f32 v[78:79], v[16:17], s[38:39] op_sel_hi:[1,0]
	v_pk_fma_f32 v[48:49], v[42:43], s[24:25], v[10:11] op_sel:[0,0,1] op_sel_hi:[1,0,0]
	v_pk_fma_f32 v[10:11], v[42:43], s[24:25], v[10:11] op_sel:[0,0,1] op_sel_hi:[1,0,0] neg_lo:[0,0,1] neg_hi:[0,0,1]
	v_mov_b32_e32 v50, v48
	v_mov_b32_e32 v51, v11
	v_pk_add_f32 v[28:29], v[50:51], v[28:29]
	ds_write2_b64 v64, v[2:3], v[28:29] offset1:143
	v_pk_mul_f32 v[2:3], v[18:19], s[34:35] op_sel_hi:[1,0]
	v_pk_fma_f32 v[80:81], v[30:31], s[24:25], v[78:79] op_sel:[0,0,1] op_sel_hi:[1,0,0]
	v_pk_fma_f32 v[28:29], v[4:5], s[10:11], v[2:3] op_sel:[0,0,1] op_sel_hi:[1,0,0]
	v_pk_fma_f32 v[2:3], v[4:5], s[10:11], v[2:3] op_sel:[0,0,1] op_sel_hi:[1,0,0] neg_lo:[0,0,1] neg_hi:[0,0,1]
	v_mov_b32_e32 v50, v28
	v_mov_b32_e32 v51, v3
	v_pk_add_f32 v[50:51], v[0:1], v[50:51]
	v_pk_fma_f32 v[78:79], v[30:31], s[24:25], v[78:79] op_sel:[0,0,1] op_sel_hi:[1,0,0] neg_lo:[0,0,1] neg_hi:[0,0,1]
	v_pk_add_f32 v[50:51], v[56:57], v[50:51]
	v_pk_mul_f32 v[56:57], v[14:15], s[38:39] op_sel_hi:[1,0]
	v_mov_b32_e32 v82, v80
	v_pk_fma_f32 v[58:59], v[34:35], s[24:25], v[56:57] op_sel:[0,0,1] op_sel_hi:[1,0,0]
	v_pk_fma_f32 v[56:57], v[34:35], s[24:25], v[56:57] op_sel:[0,0,1] op_sel_hi:[1,0,0] neg_lo:[0,0,1] neg_hi:[0,0,1]
	v_mov_b32_e32 v60, v58
	v_mov_b32_e32 v61, v57
	v_pk_add_f32 v[50:51], v[60:61], v[50:51]
	v_pk_mul_f32 v[60:61], v[6:7], s[36:37] op_sel_hi:[1,0]
	v_mov_b32_e32 v83, v79
	v_pk_fma_f32 v[62:63], v[38:39], s[14:15], v[60:61] op_sel:[0,0,1] op_sel_hi:[1,0,0]
	v_pk_fma_f32 v[60:61], v[38:39], s[14:15], v[60:61] op_sel:[0,0,1] op_sel_hi:[1,0,0] neg_lo:[0,0,1] neg_hi:[0,0,1]
	v_mov_b32_e32 v68, v62
	v_mov_b32_e32 v69, v61
	v_pk_add_f32 v[50:51], v[68:69], v[50:51]
	v_pk_mul_f32 v[68:69], v[8:9], s[28:29] op_sel_hi:[1,0]
	v_pk_mul_f32 v[96:97], v[16:17], s[36:37] op_sel_hi:[1,0]
	v_pk_fma_f32 v[70:71], v[42:43], s[0:1], v[68:69] op_sel:[0,0,1] op_sel_hi:[1,0,0]
	v_pk_fma_f32 v[68:69], v[42:43], s[0:1], v[68:69] op_sel:[0,0,1] op_sel_hi:[1,0,0] neg_lo:[0,0,1] neg_hi:[0,0,1]
	v_mov_b32_e32 v72, v70
	v_mov_b32_e32 v73, v69
	v_pk_add_f32 v[50:51], v[72:73], v[50:51]
	v_pk_mul_f32 v[72:73], v[18:19], s[16:17] op_sel_hi:[1,0]
	v_pk_fma_f32 v[98:99], v[30:31], s[14:15], v[96:97] op_sel:[0,0,1] op_sel_hi:[1,0,0]
	v_pk_fma_f32 v[74:75], v[4:5], s[14:15], v[72:73] op_sel:[0,0,1] op_sel_hi:[1,0,0]
	v_pk_fma_f32 v[72:73], v[4:5], s[14:15], v[72:73] op_sel:[0,0,1] op_sel_hi:[1,0,0] neg_lo:[0,0,1] neg_hi:[0,0,1]
	v_mov_b32_e32 v76, v74
	v_mov_b32_e32 v77, v73
	v_pk_add_f32 v[76:77], v[0:1], v[76:77]
	v_pk_fma_f32 v[96:97], v[30:31], s[14:15], v[96:97] op_sel:[0,0,1] op_sel_hi:[1,0,0] neg_lo:[0,0,1] neg_hi:[0,0,1]
	v_pk_add_f32 v[76:77], v[82:83], v[76:77]
	v_pk_mul_f32 v[82:83], v[14:15], s[30:31] op_sel_hi:[1,0]
	v_mov_b32_e32 v100, v98
	v_pk_fma_f32 v[84:85], v[34:35], s[10:11], v[82:83] op_sel:[0,0,1] op_sel_hi:[1,0,0]
	v_pk_fma_f32 v[82:83], v[34:35], s[10:11], v[82:83] op_sel:[0,0,1] op_sel_hi:[1,0,0] neg_lo:[0,0,1] neg_hi:[0,0,1]
	v_mov_b32_e32 v86, v84
	v_mov_b32_e32 v87, v83
	v_pk_add_f32 v[76:77], v[86:87], v[76:77]
	v_pk_mul_f32 v[86:87], v[6:7], s[18:19] op_sel_hi:[1,0]
	v_mov_b32_e32 v101, v97
	v_pk_fma_f32 v[88:89], v[38:39], s[0:1], v[86:87] op_sel:[0,0,1] op_sel_hi:[1,0,0]
	v_pk_fma_f32 v[86:87], v[38:39], s[0:1], v[86:87] op_sel:[0,0,1] op_sel_hi:[1,0,0] neg_lo:[0,0,1] neg_hi:[0,0,1]
	v_mov_b32_e32 v90, v88
	v_mov_b32_e32 v91, v87
	v_pk_add_f32 v[76:77], v[90:91], v[76:77]
	v_pk_mul_f32 v[90:91], v[8:9], s[22:23] op_sel_hi:[1,0]
	v_pk_mul_f32 v[16:17], v[16:17], s[28:29] op_sel_hi:[1,0]
	v_pk_fma_f32 v[92:93], v[42:43], s[20:21], v[90:91] op_sel:[0,0,1] op_sel_hi:[1,0,0]
	v_pk_fma_f32 v[90:91], v[42:43], s[20:21], v[90:91] op_sel:[0,0,1] op_sel_hi:[1,0,0] neg_lo:[0,0,1] neg_hi:[0,0,1]
	v_mov_b32_e32 v94, v92
	v_mov_b32_e32 v95, v91
	v_pk_add_f32 v[76:77], v[94:95], v[76:77]
	ds_write2_b64 v46, v[50:51], v[76:77] offset0:30 offset1:173
	v_pk_mul_f32 v[50:51], v[18:19], s[22:23] op_sel_hi:[1,0]
	v_pk_mul_f32 v[18:19], v[18:19], s[26:27] op_sel_hi:[1,0]
	v_pk_fma_f32 v[76:77], v[4:5], s[20:21], v[50:51] op_sel:[0,0,1] op_sel_hi:[1,0,0]
	v_pk_fma_f32 v[50:51], v[4:5], s[20:21], v[50:51] op_sel:[0,0,1] op_sel_hi:[1,0,0] neg_lo:[0,0,1] neg_hi:[0,0,1]
	v_mov_b32_e32 v94, v76
	v_mov_b32_e32 v95, v51
	v_pk_add_f32 v[94:95], v[0:1], v[94:95]
	v_pk_fma_f32 v[114:115], v[30:31], s[0:1], v[16:17] op_sel:[0,0,1] op_sel_hi:[1,0,0]
	v_pk_add_f32 v[94:95], v[100:101], v[94:95]
	v_pk_mul_f32 v[100:101], v[14:15], s[18:19] op_sel_hi:[1,0]
	v_pk_fma_f32 v[16:17], v[30:31], s[0:1], v[16:17] op_sel:[0,0,1] op_sel_hi:[1,0,0] neg_lo:[0,0,1] neg_hi:[0,0,1]
	v_pk_fma_f32 v[102:103], v[34:35], s[0:1], v[100:101] op_sel:[0,0,1] op_sel_hi:[1,0,0]
	v_pk_fma_f32 v[100:101], v[34:35], s[0:1], v[100:101] op_sel:[0,0,1] op_sel_hi:[1,0,0] neg_lo:[0,0,1] neg_hi:[0,0,1]
	v_mov_b32_e32 v104, v102
	v_mov_b32_e32 v105, v101
	v_pk_add_f32 v[94:95], v[104:105], v[94:95]
	v_pk_mul_f32 v[104:105], v[6:7], s[26:27] op_sel_hi:[1,0]
	v_mov_b32_e32 v30, v114
	v_pk_fma_f32 v[106:107], v[38:39], s[24:25], v[104:105] op_sel:[0,0,1] op_sel_hi:[1,0,0]
	v_pk_fma_f32 v[104:105], v[38:39], s[24:25], v[104:105] op_sel:[0,0,1] op_sel_hi:[1,0,0] neg_lo:[0,0,1] neg_hi:[0,0,1]
	v_mov_b32_e32 v108, v106
	v_mov_b32_e32 v109, v105
	v_pk_add_f32 v[94:95], v[108:109], v[94:95]
	v_pk_mul_f32 v[108:109], v[8:9], s[30:31] op_sel_hi:[1,0]
	v_mov_b32_e32 v31, v17
	v_pk_fma_f32 v[110:111], v[42:43], s[10:11], v[108:109] op_sel:[0,0,1] op_sel_hi:[1,0,0]
	v_pk_fma_f32 v[108:109], v[42:43], s[10:11], v[108:109] op_sel:[0,0,1] op_sel_hi:[1,0,0] neg_lo:[0,0,1] neg_hi:[0,0,1]
	v_mov_b32_e32 v112, v110
	v_mov_b32_e32 v113, v109
	v_pk_add_f32 v[94:95], v[112:113], v[94:95]
	v_pk_fma_f32 v[112:113], v[4:5], s[24:25], v[18:19] op_sel:[0,0,1] op_sel_hi:[1,0,0]
	v_pk_fma_f32 v[4:5], v[4:5], s[24:25], v[18:19] op_sel:[0,0,1] op_sel_hi:[1,0,0] neg_lo:[0,0,1] neg_hi:[0,0,1]
	v_mov_b32_e32 v18, v112
	v_mov_b32_e32 v19, v5
	v_pk_add_f32 v[18:19], v[0:1], v[18:19]
	v_pk_mul_f32 v[14:15], v[14:15], s[22:23] op_sel_hi:[1,0]
	v_pk_add_f32 v[18:19], v[30:31], v[18:19]
	v_pk_fma_f32 v[30:31], v[34:35], s[20:21], v[14:15] op_sel:[0,0,1] op_sel_hi:[1,0,0]
	v_pk_fma_f32 v[14:15], v[34:35], s[20:21], v[14:15] op_sel:[0,0,1] op_sel_hi:[1,0,0] neg_lo:[0,0,1] neg_hi:[0,0,1]
	v_mov_b32_e32 v5, v113
	v_mov_b32_e32 v34, v30
	;; [unrolled: 1-line block ×3, first 2 shown]
	v_pk_mul_f32 v[6:7], v[6:7], s[30:31] op_sel_hi:[1,0]
	v_pk_add_f32 v[4:5], v[0:1], v[4:5]
	v_mov_b32_e32 v17, v115
	v_pk_add_f32 v[18:19], v[34:35], v[18:19]
	v_pk_fma_f32 v[34:35], v[38:39], s[10:11], v[6:7] op_sel:[0,0,1] op_sel_hi:[1,0,0]
	v_pk_fma_f32 v[6:7], v[38:39], s[10:11], v[6:7] op_sel:[0,0,1] op_sel_hi:[1,0,0] neg_lo:[0,0,1] neg_hi:[0,0,1]
	v_pk_add_f32 v[4:5], v[16:17], v[4:5]
	v_mov_b32_e32 v15, v31
	v_mov_b32_e32 v39, v7
	v_pk_add_f32 v[4:5], v[14:15], v[4:5]
	v_mov_b32_e32 v7, v35
	v_mov_b32_e32 v51, v77
	v_pk_add_f32 v[4:5], v[6:7], v[4:5]
	v_pk_add_f32 v[6:7], v[0:1], v[50:51]
	v_mov_b32_e32 v97, v99
	v_mov_b32_e32 v38, v34
	v_pk_mul_f32 v[8:9], v[8:9], s[16:17] op_sel_hi:[1,0]
	v_pk_add_f32 v[6:7], v[96:97], v[6:7]
	v_mov_b32_e32 v101, v103
	v_pk_add_f32 v[18:19], v[38:39], v[18:19]
	v_pk_fma_f32 v[38:39], v[42:43], s[14:15], v[8:9] op_sel:[0,0,1] op_sel_hi:[1,0,0]
	v_pk_fma_f32 v[8:9], v[42:43], s[14:15], v[8:9] op_sel:[0,0,1] op_sel_hi:[1,0,0] neg_lo:[0,0,1] neg_hi:[0,0,1]
	v_pk_add_f32 v[6:7], v[100:101], v[6:7]
	v_mov_b32_e32 v105, v107
	v_mov_b32_e32 v43, v9
	v_mov_b32_e32 v9, v39
	v_pk_add_f32 v[6:7], v[104:105], v[6:7]
	v_mov_b32_e32 v109, v111
	v_pk_add_f32 v[4:5], v[8:9], v[4:5]
	v_pk_add_f32 v[6:7], v[108:109], v[6:7]
	v_mov_b32_e32 v73, v75
	v_mov_b32_e32 v3, v29
	;; [unrolled: 1-line block ×3, first 2 shown]
	ds_write2_b64 v44, v[4:5], v[6:7] offset0:90 offset1:233
	v_pk_add_f32 v[4:5], v[0:1], v[72:73]
	v_mov_b32_e32 v79, v81
	v_pk_add_f32 v[2:3], v[0:1], v[2:3]
	v_mov_b32_e32 v53, v55
	;; [unrolled: 2-line block ×9, first 2 shown]
	v_mov_b32_e32 v42, v38
	v_pk_add_f32 v[4:5], v[86:87], v[4:5]
	v_mov_b32_e32 v91, v93
	v_pk_add_f32 v[2:3], v[60:61], v[2:3]
	;; [unrolled: 2-line block ×4, first 2 shown]
	v_pk_add_f32 v[4:5], v[90:91], v[4:5]
	v_pk_add_f32 v[2:3], v[68:69], v[2:3]
	;; [unrolled: 1-line block ×3, first 2 shown]
	ds_write2_b64 v45, v[94:95], v[18:19] offset0:60 offset1:203
	ds_write2_b64 v47, v[4:5], v[2:3] offset0:56 offset1:199
	ds_write_b64 v64, v[0:1] offset:11440
	s_waitcnt lgkmcnt(0)
	s_barrier
	s_and_b64 exec, exec, s[2:3]
	s_cbranch_execz .LBB0_15
; %bb.14:
	global_load_dwordx2 v[8:9], v64, s[8:9]
	global_load_dwordx2 v[10:11], v64, s[8:9] offset:968
	global_load_dwordx2 v[12:13], v64, s[8:9] offset:1936
	global_load_dwordx2 v[14:15], v64, s[8:9] offset:2904
	ds_read_b64 v[16:17], v64
	global_load_dwordx2 v[24:25], v64, s[8:9] offset:3872
	v_mov_b32_e32 v65, 0
	v_mad_u64_u32 v[20:21], s[0:1], s6, v66, 0
	v_mad_u64_u32 v[22:23], s[2:3], s4, v67, 0
	v_lshl_add_u64 v[28:29], s[8:9], 0, v[64:65]
	v_mov_b32_e32 v26, v21
	v_mov_b32_e32 v30, v23
	v_add_co_u32_e32 v32, vcc, s11, v28
	v_mad_u64_u32 v[26:27], s[6:7], s7, v66, v[26:27]
	v_mad_u64_u32 v[30:31], s[6:7], s5, v67, v[30:31]
	v_addc_co_u32_e32 v33, vcc, 0, v29, vcc
	ds_read2_b64 v[0:3], v64 offset0:121 offset1:242
	ds_read2_b64 v[4:7], v46 offset0:107 offset1:228
	v_mov_b32_e32 v21, v26
	v_mov_b32_e32 v23, v30
	global_load_dwordx2 v[26:27], v[32:33], off offset:744
	global_load_dwordx2 v[30:31], v[32:33], off offset:1712
	;; [unrolled: 1-line block ×4, first 2 shown]
	v_mov_b32_e32 v18, s12
	v_mov_b32_e32 v19, s13
	v_lshl_add_u64 v[18:19], v[20:21], 3, v[18:19]
	s_mov_b32 s0, 0x49b95e3b
	v_mov_b32_e32 v38, 0x3c8
	v_lshl_add_u64 v[18:19], v[22:23], 3, v[18:19]
	s_mov_b32 s1, 0x3f44d4df
	s_mul_i32 s2, s5, 0x3c8
	v_mad_u64_u32 v[20:21], s[6:7], s4, v38, v[18:19]
	v_add_u32_e32 v21, s2, v21
	v_mad_u64_u32 v[22:23], s[6:7], s4, v38, v[20:21]
	s_movk_i32 s3, 0x2000
	v_add_u32_e32 v23, s2, v23
	s_waitcnt vmcnt(8) lgkmcnt(2)
	v_mul_f32_e32 v32, v17, v9
	v_mul_f32_e32 v9, v16, v9
	s_waitcnt vmcnt(7) lgkmcnt(1)
	v_mul_f32_e32 v33, v1, v11
	s_waitcnt vmcnt(6)
	v_mul_f32_e32 v39, v3, v13
	v_mul_f32_e32 v11, v0, v11
	;; [unrolled: 1-line block ×3, first 2 shown]
	s_waitcnt vmcnt(5) lgkmcnt(0)
	v_mul_f32_e32 v40, v5, v15
	v_mul_f32_e32 v15, v4, v15
	v_fmac_f32_e32 v32, v16, v8
	v_fma_f32 v8, v8, v17, -v9
	v_fmac_f32_e32 v33, v0, v10
	v_fmac_f32_e32 v39, v2, v12
	v_fma_f32 v9, v10, v1, -v11
	v_fma_f32 v12, v12, v3, -v13
	v_fmac_f32_e32 v40, v4, v14
	v_fma_f32 v16, v14, v5, -v15
	v_cvt_f64_f32_e32 v[0:1], v32
	v_cvt_f64_f32_e32 v[2:3], v8
	v_cvt_f64_f32_e32 v[4:5], v33
	v_cvt_f64_f32_e32 v[10:11], v39
	v_cvt_f64_f32_e32 v[8:9], v9
	v_cvt_f64_f32_e32 v[12:13], v12
	v_mul_f64 v[0:1], v[0:1], s[0:1]
	v_mul_f64 v[2:3], v[2:3], s[0:1]
	;; [unrolled: 1-line block ×6, first 2 shown]
	v_cvt_f32_f64_e32 v0, v[0:1]
	v_cvt_f32_f64_e32 v1, v[2:3]
	;; [unrolled: 1-line block ×6, first 2 shown]
	global_store_dwordx2 v[18:19], v[0:1], off
	global_store_dwordx2 v[20:21], v[2:3], off
	;; [unrolled: 1-line block ×3, first 2 shown]
	v_add_co_u32_e32 v4, vcc, s3, v28
	s_waitcnt vmcnt(7)
	v_mul_f32_e32 v0, v7, v25
	v_addc_co_u32_e32 v5, vcc, 0, v29, vcc
	global_load_dwordx2 v[10:11], v[4:5], off offset:520
	v_cvt_f64_f32_e32 v[14:15], v40
	v_cvt_f64_f32_e32 v[16:17], v16
	v_fmac_f32_e32 v0, v6, v24
	v_mul_f64 v[14:15], v[14:15], s[0:1]
	v_mul_f64 v[16:17], v[16:17], s[0:1]
	v_mad_u64_u32 v[12:13], s[6:7], s4, v38, v[22:23]
	v_cvt_f64_f32_e32 v[0:1], v0
	v_cvt_f32_f64_e32 v8, v[14:15]
	v_cvt_f32_f64_e32 v9, v[16:17]
	v_add_u32_e32 v13, s2, v13
	v_mul_f64 v[0:1], v[0:1], s[0:1]
	global_store_dwordx2 v[12:13], v[8:9], off
	v_cvt_f32_f64_e32 v8, v[0:1]
	v_mul_f32_e32 v0, v6, v25
	v_fma_f32 v0, v24, v7, -v0
	global_load_dwordx2 v[6:7], v[4:5], off offset:1488
	global_load_dwordx2 v[14:15], v[4:5], off offset:2456
	v_cvt_f64_f32_e32 v[0:1], v0
	v_mul_f64 v[0:1], v[0:1], s[0:1]
	v_cvt_f32_f64_e32 v9, v[0:1]
	ds_read2_b64 v[0:3], v45 offset0:93 offset1:214
	v_mad_u64_u32 v[12:13], s[6:7], s4, v38, v[12:13]
	v_add_u32_e32 v13, s2, v13
	global_store_dwordx2 v[12:13], v[8:9], off
	s_waitcnt vmcnt(11) lgkmcnt(0)
	v_mul_f32_e32 v8, v1, v27
	v_fmac_f32_e32 v8, v0, v26
	v_mul_f32_e32 v0, v0, v27
	v_fma_f32 v0, v26, v1, -v0
	v_cvt_f64_f32_e32 v[8:9], v8
	v_cvt_f64_f32_e32 v[0:1], v0
	v_mul_f64 v[8:9], v[8:9], s[0:1]
	v_mul_f64 v[0:1], v[0:1], s[0:1]
	v_cvt_f32_f64_e32 v8, v[8:9]
	v_cvt_f32_f64_e32 v9, v[0:1]
	s_waitcnt vmcnt(10)
	v_mul_f32_e32 v0, v3, v31
	v_fmac_f32_e32 v0, v2, v30
	v_mad_u64_u32 v[12:13], s[6:7], s4, v38, v[12:13]
	v_cvt_f64_f32_e32 v[0:1], v0
	v_add_u32_e32 v13, s2, v13
	v_mul_f64 v[0:1], v[0:1], s[0:1]
	global_store_dwordx2 v[12:13], v[8:9], off
	v_cvt_f32_f64_e32 v8, v[0:1]
	v_mul_f32_e32 v0, v2, v31
	v_fma_f32 v0, v30, v3, -v0
	v_cvt_f64_f32_e32 v[0:1], v0
	v_mul_f64 v[0:1], v[0:1], s[0:1]
	v_cvt_f32_f64_e32 v9, v[0:1]
	ds_read2_b64 v[0:3], v44 offset0:79 offset1:200
	v_mad_u64_u32 v[12:13], s[6:7], s4, v38, v[12:13]
	v_add_u32_e32 v13, s2, v13
	global_store_dwordx2 v[12:13], v[8:9], off
	s_waitcnt vmcnt(11) lgkmcnt(0)
	v_mul_f32_e32 v8, v1, v35
	v_fmac_f32_e32 v8, v0, v34
	v_mul_f32_e32 v0, v0, v35
	v_fma_f32 v0, v34, v1, -v0
	v_cvt_f64_f32_e32 v[8:9], v8
	v_cvt_f64_f32_e32 v[0:1], v0
	v_mul_f64 v[8:9], v[8:9], s[0:1]
	v_mul_f64 v[0:1], v[0:1], s[0:1]
	v_cvt_f32_f64_e32 v8, v[8:9]
	v_cvt_f32_f64_e32 v9, v[0:1]
	s_waitcnt vmcnt(10)
	v_mul_f32_e32 v0, v3, v37
	v_fmac_f32_e32 v0, v2, v36
	v_mad_u64_u32 v[12:13], s[6:7], s4, v38, v[12:13]
	v_cvt_f64_f32_e32 v[0:1], v0
	v_add_u32_e32 v13, s2, v13
	v_mul_f64 v[0:1], v[0:1], s[0:1]
	global_store_dwordx2 v[12:13], v[8:9], off
	v_cvt_f32_f64_e32 v8, v[0:1]
	v_mul_f32_e32 v0, v2, v37
	v_fma_f32 v0, v36, v3, -v0
	v_cvt_f64_f32_e32 v[0:1], v0
	v_mul_f64 v[0:1], v[0:1], s[0:1]
	v_cvt_f32_f64_e32 v9, v[0:1]
	v_add_u32_e32 v0, 0x2000, v64
	ds_read2_b64 v[0:3], v0 offset0:65 offset1:186
	v_mad_u64_u32 v[12:13], s[6:7], s4, v38, v[12:13]
	v_add_u32_e32 v13, s2, v13
	global_store_dwordx2 v[12:13], v[8:9], off
	s_waitcnt vmcnt(8) lgkmcnt(0)
	v_mul_f32_e32 v8, v1, v11
	v_fmac_f32_e32 v8, v0, v10
	v_mul_f32_e32 v0, v0, v11
	v_fma_f32 v0, v10, v1, -v0
	v_cvt_f64_f32_e32 v[8:9], v8
	v_cvt_f64_f32_e32 v[0:1], v0
	v_mul_f64 v[8:9], v[8:9], s[0:1]
	v_mul_f64 v[0:1], v[0:1], s[0:1]
	v_cvt_f32_f64_e32 v8, v[8:9]
	v_cvt_f32_f64_e32 v9, v[0:1]
	v_mad_u64_u32 v[10:11], s[6:7], s4, v38, v[12:13]
	s_waitcnt vmcnt(6)
	v_mul_f32_e32 v0, v3, v7
	v_fmac_f32_e32 v0, v2, v6
	v_cvt_f64_f32_e32 v[0:1], v0
	v_add_u32_e32 v11, s2, v11
	v_mul_f64 v[0:1], v[0:1], s[0:1]
	global_store_dwordx2 v[10:11], v[8:9], off
	v_cvt_f32_f64_e32 v8, v[0:1]
	v_mul_f32_e32 v0, v2, v7
	v_fma_f32 v0, v6, v3, -v0
	v_cvt_f64_f32_e32 v[0:1], v0
	v_mul_f64 v[0:1], v[0:1], s[0:1]
	v_cvt_f32_f64_e32 v9, v[0:1]
	v_add_u32_e32 v0, 0x2800, v64
	ds_read2_b64 v[0:3], v0 offset0:51 offset1:172
	v_mad_u64_u32 v[6:7], s[6:7], s4, v38, v[10:11]
	v_add_u32_e32 v7, s2, v7
	global_store_dwordx2 v[6:7], v[8:9], off
	s_waitcnt vmcnt(7) lgkmcnt(0)
	v_mul_f32_e32 v8, v1, v15
	v_fmac_f32_e32 v8, v0, v14
	v_mul_f32_e32 v0, v0, v15
	v_fma_f32 v0, v14, v1, -v0
	v_cvt_f64_f32_e32 v[8:9], v8
	v_cvt_f64_f32_e32 v[0:1], v0
	v_mul_f64 v[8:9], v[8:9], s[0:1]
	v_mul_f64 v[0:1], v[0:1], s[0:1]
	v_cvt_f32_f64_e32 v8, v[8:9]
	v_cvt_f32_f64_e32 v9, v[0:1]
	v_mad_u64_u32 v[0:1], s[6:7], s4, v38, v[6:7]
	v_add_u32_e32 v1, s2, v1
	global_store_dwordx2 v[0:1], v[8:9], off
	global_load_dwordx2 v[4:5], v[4:5], off offset:3424
	s_waitcnt vmcnt(0)
	v_mul_f32_e32 v6, v3, v5
	v_fmac_f32_e32 v6, v2, v4
	v_mul_f32_e32 v2, v2, v5
	v_fma_f32 v2, v4, v3, -v2
	v_cvt_f64_f32_e32 v[6:7], v6
	v_cvt_f64_f32_e32 v[2:3], v2
	v_mul_f64 v[6:7], v[6:7], s[0:1]
	v_mul_f64 v[2:3], v[2:3], s[0:1]
	v_mad_u64_u32 v[0:1], s[0:1], s4, v38, v[0:1]
	v_cvt_f32_f64_e32 v6, v[6:7]
	v_cvt_f32_f64_e32 v7, v[2:3]
	v_add_u32_e32 v1, s2, v1
	global_store_dwordx2 v[0:1], v[6:7], off
.LBB0_15:
	s_endpgm
	.section	.rodata,"a",@progbits
	.p2align	6, 0x0
	.amdhsa_kernel bluestein_single_fwd_len1573_dim1_sp_op_CI_CI
		.amdhsa_group_segment_fixed_size 12584
		.amdhsa_private_segment_fixed_size 0
		.amdhsa_kernarg_size 104
		.amdhsa_user_sgpr_count 2
		.amdhsa_user_sgpr_dispatch_ptr 0
		.amdhsa_user_sgpr_queue_ptr 0
		.amdhsa_user_sgpr_kernarg_segment_ptr 1
		.amdhsa_user_sgpr_dispatch_id 0
		.amdhsa_user_sgpr_kernarg_preload_length 0
		.amdhsa_user_sgpr_kernarg_preload_offset 0
		.amdhsa_user_sgpr_private_segment_size 0
		.amdhsa_uses_dynamic_stack 0
		.amdhsa_enable_private_segment 0
		.amdhsa_system_sgpr_workgroup_id_x 1
		.amdhsa_system_sgpr_workgroup_id_y 0
		.amdhsa_system_sgpr_workgroup_id_z 0
		.amdhsa_system_sgpr_workgroup_info 0
		.amdhsa_system_vgpr_workitem_id 0
		.amdhsa_next_free_vgpr 234
		.amdhsa_next_free_sgpr 48
		.amdhsa_accum_offset 236
		.amdhsa_reserve_vcc 1
		.amdhsa_float_round_mode_32 0
		.amdhsa_float_round_mode_16_64 0
		.amdhsa_float_denorm_mode_32 3
		.amdhsa_float_denorm_mode_16_64 3
		.amdhsa_dx10_clamp 1
		.amdhsa_ieee_mode 1
		.amdhsa_fp16_overflow 0
		.amdhsa_tg_split 0
		.amdhsa_exception_fp_ieee_invalid_op 0
		.amdhsa_exception_fp_denorm_src 0
		.amdhsa_exception_fp_ieee_div_zero 0
		.amdhsa_exception_fp_ieee_overflow 0
		.amdhsa_exception_fp_ieee_underflow 0
		.amdhsa_exception_fp_ieee_inexact 0
		.amdhsa_exception_int_div_zero 0
	.end_amdhsa_kernel
	.text
.Lfunc_end0:
	.size	bluestein_single_fwd_len1573_dim1_sp_op_CI_CI, .Lfunc_end0-bluestein_single_fwd_len1573_dim1_sp_op_CI_CI
                                        ; -- End function
	.section	.AMDGPU.csdata,"",@progbits
; Kernel info:
; codeLenInByte = 16580
; NumSgprs: 54
; NumVgprs: 234
; NumAgprs: 0
; TotalNumVgprs: 234
; ScratchSize: 0
; MemoryBound: 0
; FloatMode: 240
; IeeeMode: 1
; LDSByteSize: 12584 bytes/workgroup (compile time only)
; SGPRBlocks: 6
; VGPRBlocks: 29
; NumSGPRsForWavesPerEU: 54
; NumVGPRsForWavesPerEU: 234
; AccumOffset: 236
; Occupancy: 2
; WaveLimiterHint : 1
; COMPUTE_PGM_RSRC2:SCRATCH_EN: 0
; COMPUTE_PGM_RSRC2:USER_SGPR: 2
; COMPUTE_PGM_RSRC2:TRAP_HANDLER: 0
; COMPUTE_PGM_RSRC2:TGID_X_EN: 1
; COMPUTE_PGM_RSRC2:TGID_Y_EN: 0
; COMPUTE_PGM_RSRC2:TGID_Z_EN: 0
; COMPUTE_PGM_RSRC2:TIDIG_COMP_CNT: 0
; COMPUTE_PGM_RSRC3_GFX90A:ACCUM_OFFSET: 58
; COMPUTE_PGM_RSRC3_GFX90A:TG_SPLIT: 0
	.text
	.p2alignl 6, 3212836864
	.fill 256, 4, 3212836864
	.type	__hip_cuid_6e4f63b9ee88e020,@object ; @__hip_cuid_6e4f63b9ee88e020
	.section	.bss,"aw",@nobits
	.globl	__hip_cuid_6e4f63b9ee88e020
__hip_cuid_6e4f63b9ee88e020:
	.byte	0                               ; 0x0
	.size	__hip_cuid_6e4f63b9ee88e020, 1

	.ident	"AMD clang version 19.0.0git (https://github.com/RadeonOpenCompute/llvm-project roc-6.4.0 25133 c7fe45cf4b819c5991fe208aaa96edf142730f1d)"
	.section	".note.GNU-stack","",@progbits
	.addrsig
	.addrsig_sym __hip_cuid_6e4f63b9ee88e020
	.amdgpu_metadata
---
amdhsa.kernels:
  - .agpr_count:     0
    .args:
      - .actual_access:  read_only
        .address_space:  global
        .offset:         0
        .size:           8
        .value_kind:     global_buffer
      - .actual_access:  read_only
        .address_space:  global
        .offset:         8
        .size:           8
        .value_kind:     global_buffer
      - .actual_access:  read_only
        .address_space:  global
        .offset:         16
        .size:           8
        .value_kind:     global_buffer
      - .actual_access:  read_only
        .address_space:  global
        .offset:         24
        .size:           8
        .value_kind:     global_buffer
      - .actual_access:  read_only
        .address_space:  global
        .offset:         32
        .size:           8
        .value_kind:     global_buffer
      - .offset:         40
        .size:           8
        .value_kind:     by_value
      - .address_space:  global
        .offset:         48
        .size:           8
        .value_kind:     global_buffer
      - .address_space:  global
        .offset:         56
        .size:           8
        .value_kind:     global_buffer
      - .address_space:  global
        .offset:         64
        .size:           8
        .value_kind:     global_buffer
      - .address_space:  global
        .offset:         72
        .size:           8
        .value_kind:     global_buffer
      - .offset:         80
        .size:           4
        .value_kind:     by_value
      - .address_space:  global
        .offset:         88
        .size:           8
        .value_kind:     global_buffer
      - .address_space:  global
        .offset:         96
        .size:           8
        .value_kind:     global_buffer
    .group_segment_fixed_size: 12584
    .kernarg_segment_align: 8
    .kernarg_segment_size: 104
    .language:       OpenCL C
    .language_version:
      - 2
      - 0
    .max_flat_workgroup_size: 143
    .name:           bluestein_single_fwd_len1573_dim1_sp_op_CI_CI
    .private_segment_fixed_size: 0
    .sgpr_count:     54
    .sgpr_spill_count: 0
    .symbol:         bluestein_single_fwd_len1573_dim1_sp_op_CI_CI.kd
    .uniform_work_group_size: 1
    .uses_dynamic_stack: false
    .vgpr_count:     234
    .vgpr_spill_count: 0
    .wavefront_size: 64
amdhsa.target:   amdgcn-amd-amdhsa--gfx950
amdhsa.version:
  - 1
  - 2
...

	.end_amdgpu_metadata
